;; amdgpu-corpus repo=ROCm/rocSPARSE kind=compiled arch=gfx1250 opt=O3
	.amdgcn_target "amdgcn-amd-amdhsa--gfx1250"
	.amdhsa_code_object_version 6
	.section	.text._ZN9rocsparseL23nnz_total_device_kernelEiPKiPi,"axG",@progbits,_ZN9rocsparseL23nnz_total_device_kernelEiPKiPi,comdat
	.globl	_ZN9rocsparseL23nnz_total_device_kernelEiPKiPi ; -- Begin function _ZN9rocsparseL23nnz_total_device_kernelEiPKiPi
	.p2align	8
	.type	_ZN9rocsparseL23nnz_total_device_kernelEiPKiPi,@function
_ZN9rocsparseL23nnz_total_device_kernelEiPKiPi: ; @_ZN9rocsparseL23nnz_total_device_kernelEiPKiPi
; %bb.0:
	s_cmp_lg_u32 0, 0
	s_cbranch_scc0 .LBB0_2
; %bb.1:
	s_endpgm
.LBB0_2:
	s_clause 0x1
	s_load_b32 s2, s[0:1], 0x0
	s_load_b128 s[4:7], s[0:1], 0x8
	s_wait_kmcnt 0x0
	s_ashr_i32 s3, s2, 31
	s_delay_alu instid0(SALU_CYCLE_1) | instskip(NEXT) | instid1(SALU_CYCLE_1)
	s_lshl_b64 s[0:1], s[2:3], 2
	s_add_nc_u64 s[0:1], s[4:5], s[0:1]
	s_clause 0x1
	s_load_b32 s2, s[0:1], 0x0
	s_load_b32 s3, s[4:5], 0x0
	s_wait_kmcnt 0x0
	s_sub_co_i32 s0, s2, s3
	s_delay_alu instid0(SALU_CYCLE_1)
	v_dual_mov_b32 v0, 0 :: v_dual_mov_b32 v1, s0
	global_store_b32 v0, v1, s[6:7]
	s_endpgm
	.section	.rodata,"a",@progbits
	.p2align	6, 0x0
	.amdhsa_kernel _ZN9rocsparseL23nnz_total_device_kernelEiPKiPi
		.amdhsa_group_segment_fixed_size 0
		.amdhsa_private_segment_fixed_size 0
		.amdhsa_kernarg_size 24
		.amdhsa_user_sgpr_count 2
		.amdhsa_user_sgpr_dispatch_ptr 0
		.amdhsa_user_sgpr_queue_ptr 0
		.amdhsa_user_sgpr_kernarg_segment_ptr 1
		.amdhsa_user_sgpr_dispatch_id 0
		.amdhsa_user_sgpr_kernarg_preload_length 0
		.amdhsa_user_sgpr_kernarg_preload_offset 0
		.amdhsa_user_sgpr_private_segment_size 0
		.amdhsa_wavefront_size32 1
		.amdhsa_uses_dynamic_stack 0
		.amdhsa_enable_private_segment 0
		.amdhsa_system_sgpr_workgroup_id_x 1
		.amdhsa_system_sgpr_workgroup_id_y 0
		.amdhsa_system_sgpr_workgroup_id_z 0
		.amdhsa_system_sgpr_workgroup_info 0
		.amdhsa_system_vgpr_workitem_id 0
		.amdhsa_next_free_vgpr 2
		.amdhsa_next_free_sgpr 8
		.amdhsa_named_barrier_count 0
		.amdhsa_reserve_vcc 0
		.amdhsa_float_round_mode_32 0
		.amdhsa_float_round_mode_16_64 0
		.amdhsa_float_denorm_mode_32 3
		.amdhsa_float_denorm_mode_16_64 3
		.amdhsa_fp16_overflow 0
		.amdhsa_memory_ordered 1
		.amdhsa_forward_progress 1
		.amdhsa_inst_pref_size 1
		.amdhsa_round_robin_scheduling 0
		.amdhsa_exception_fp_ieee_invalid_op 0
		.amdhsa_exception_fp_denorm_src 0
		.amdhsa_exception_fp_ieee_div_zero 0
		.amdhsa_exception_fp_ieee_overflow 0
		.amdhsa_exception_fp_ieee_underflow 0
		.amdhsa_exception_fp_ieee_inexact 0
		.amdhsa_exception_int_div_zero 0
	.end_amdhsa_kernel
	.section	.text._ZN9rocsparseL23nnz_total_device_kernelEiPKiPi,"axG",@progbits,_ZN9rocsparseL23nnz_total_device_kernelEiPKiPi,comdat
.Lfunc_end0:
	.size	_ZN9rocsparseL23nnz_total_device_kernelEiPKiPi, .Lfunc_end0-_ZN9rocsparseL23nnz_total_device_kernelEiPKiPi
                                        ; -- End function
	.set _ZN9rocsparseL23nnz_total_device_kernelEiPKiPi.num_vgpr, 2
	.set _ZN9rocsparseL23nnz_total_device_kernelEiPKiPi.num_agpr, 0
	.set _ZN9rocsparseL23nnz_total_device_kernelEiPKiPi.numbered_sgpr, 8
	.set _ZN9rocsparseL23nnz_total_device_kernelEiPKiPi.num_named_barrier, 0
	.set _ZN9rocsparseL23nnz_total_device_kernelEiPKiPi.private_seg_size, 0
	.set _ZN9rocsparseL23nnz_total_device_kernelEiPKiPi.uses_vcc, 0
	.set _ZN9rocsparseL23nnz_total_device_kernelEiPKiPi.uses_flat_scratch, 0
	.set _ZN9rocsparseL23nnz_total_device_kernelEiPKiPi.has_dyn_sized_stack, 0
	.set _ZN9rocsparseL23nnz_total_device_kernelEiPKiPi.has_recursion, 0
	.set _ZN9rocsparseL23nnz_total_device_kernelEiPKiPi.has_indirect_call, 0
	.section	.AMDGPU.csdata,"",@progbits
; Kernel info:
; codeLenInByte = 108
; TotalNumSgprs: 8
; NumVgprs: 2
; ScratchSize: 0
; MemoryBound: 0
; FloatMode: 240
; IeeeMode: 1
; LDSByteSize: 0 bytes/workgroup (compile time only)
; SGPRBlocks: 0
; VGPRBlocks: 0
; NumSGPRsForWavesPerEU: 8
; NumVGPRsForWavesPerEU: 2
; NamedBarCnt: 0
; Occupancy: 16
; WaveLimiterHint : 0
; COMPUTE_PGM_RSRC2:SCRATCH_EN: 0
; COMPUTE_PGM_RSRC2:USER_SGPR: 2
; COMPUTE_PGM_RSRC2:TRAP_HANDLER: 0
; COMPUTE_PGM_RSRC2:TGID_X_EN: 1
; COMPUTE_PGM_RSRC2:TGID_Y_EN: 0
; COMPUTE_PGM_RSRC2:TGID_Z_EN: 0
; COMPUTE_PGM_RSRC2:TIDIG_COMP_CNT: 0
	.section	.text._ZN9rocsparseL10abs_kernelILi256EfEEviiPKT0_lPS1_,"axG",@progbits,_ZN9rocsparseL10abs_kernelILi256EfEEviiPKT0_lPS1_,comdat
	.globl	_ZN9rocsparseL10abs_kernelILi256EfEEviiPKT0_lPS1_ ; -- Begin function _ZN9rocsparseL10abs_kernelILi256EfEEviiPKT0_lPS1_
	.p2align	8
	.type	_ZN9rocsparseL10abs_kernelILi256EfEEviiPKT0_lPS1_,@function
_ZN9rocsparseL10abs_kernelILi256EfEEviiPKT0_lPS1_: ; @_ZN9rocsparseL10abs_kernelILi256EfEEviiPKT0_lPS1_
; %bb.0:
	s_load_b64 s[2:3], s[0:1], 0x0
	s_bfe_u32 s4, ttmp6, 0x4000c
	s_and_b32 s5, ttmp6, 15
	s_add_co_i32 s4, s4, 1
	s_getreg_b32 s6, hwreg(HW_REG_IB_STS2, 6, 4)
	s_mul_i32 s4, ttmp9, s4
	s_delay_alu instid0(SALU_CYCLE_1) | instskip(SKIP_2) | instid1(SALU_CYCLE_1)
	s_add_co_i32 s5, s5, s4
	s_cmp_eq_u32 s6, 0
	s_cselect_b32 s4, ttmp9, s5
	v_lshl_or_b32 v0, s4, 8, v0
	s_wait_kmcnt 0x0
	s_mul_i32 s3, s3, s2
	s_delay_alu instid0(VALU_DEP_1) | instid1(SALU_CYCLE_1)
	v_cmp_gt_i32_e32 vcc_lo, s3, v0
	s_and_saveexec_b32 s3, vcc_lo
	s_cbranch_execz .LBB1_2
; %bb.1:
	s_abs_i32 s3, s2
	s_delay_alu instid0(SALU_CYCLE_1) | instskip(SKIP_1) | instid1(SALU_CYCLE_2)
	s_cvt_f32_u32 s4, s3
	s_sub_co_i32 s5, 0, s3
	v_rcp_iflag_f32_e32 v1, s4
	v_nop
	s_delay_alu instid0(TRANS32_DEP_1) | instskip(SKIP_2) | instid1(VALU_DEP_1)
	v_readfirstlane_b32 s4, v1
	v_sub_nc_u32_e32 v1, 0, v0
	s_mul_f32 s4, s4, 0x4f7ffffe
	v_max_i32_e32 v1, v0, v1
	s_delay_alu instid0(SALU_CYCLE_2) | instskip(NEXT) | instid1(SALU_CYCLE_3)
	s_cvt_u32_f32 s4, s4
	s_mul_i32 s5, s5, s4
	s_delay_alu instid0(SALU_CYCLE_1) | instskip(NEXT) | instid1(SALU_CYCLE_1)
	s_mul_hi_u32 s5, s4, s5
	s_add_co_i32 s4, s4, s5
	s_delay_alu instid0(SALU_CYCLE_1) | instskip(SKIP_1) | instid1(VALU_DEP_1)
	v_mul_hi_u32 v2, v1, s4
	s_load_b128 s[4:7], s[0:1], 0x8
	v_mul_lo_u32 v3, v2, s3
	s_wait_xcnt 0x0
	s_load_b64 s[0:1], s[0:1], 0x18
	s_delay_alu instid0(VALU_DEP_1) | instskip(NEXT) | instid1(VALU_DEP_1)
	v_dual_sub_nc_u32 v1, v1, v3 :: v_dual_add_nc_u32 v3, 1, v2
	v_cmp_le_u32_e32 vcc_lo, s3, v1
	s_delay_alu instid0(VALU_DEP_2) | instskip(SKIP_1) | instid1(VALU_DEP_1)
	v_dual_cndmask_b32 v2, v2, v3, vcc_lo :: v_dual_bitop2_b32 v3, s2, v0 bitop3:0x14
	v_subrev_nc_u32_e32 v4, s3, v1
	v_dual_cndmask_b32 v1, v1, v4 :: v_dual_add_nc_u32 v4, 1, v2
	s_delay_alu instid0(VALU_DEP_1) | instskip(NEXT) | instid1(VALU_DEP_2)
	v_cmp_le_u32_e32 vcc_lo, s3, v1
	v_dual_ashrrev_i32 v3, 31, v3 :: v_dual_cndmask_b32 v1, v2, v4, vcc_lo
	s_delay_alu instid0(VALU_DEP_1) | instskip(NEXT) | instid1(VALU_DEP_1)
	v_xor_b32_e32 v1, v1, v3
	v_sub_nc_u32_e32 v2, v1, v3
	s_delay_alu instid0(VALU_DEP_1) | instskip(SKIP_2) | instid1(VALU_DEP_2)
	v_ashrrev_i32_e32 v3, 31, v2
	v_mul_lo_u32 v1, v2, s2
	s_wait_kmcnt 0x0
	v_mul_u64_e32 v[4:5], s[6:7], v[2:3]
	s_delay_alu instid0(VALU_DEP_2) | instskip(NEXT) | instid1(VALU_DEP_1)
	v_sub_nc_u32_e32 v2, v0, v1
	v_ashrrev_i32_e32 v3, 31, v2
	s_delay_alu instid0(VALU_DEP_3) | instskip(NEXT) | instid1(VALU_DEP_1)
	v_lshl_add_u64 v[4:5], v[4:5], 2, s[4:5]
	v_lshl_add_u64 v[2:3], v[2:3], 2, v[4:5]
	global_load_b32 v1, v[2:3], off
	s_wait_loadcnt 0x0
	v_cmp_gt_f32_e32 vcc_lo, 0, v1
	v_cndmask_b32_e64 v1, v1, -v1, vcc_lo
	global_store_b32 v0, v1, s[0:1] scale_offset
.LBB1_2:
	s_endpgm
	.section	.rodata,"a",@progbits
	.p2align	6, 0x0
	.amdhsa_kernel _ZN9rocsparseL10abs_kernelILi256EfEEviiPKT0_lPS1_
		.amdhsa_group_segment_fixed_size 0
		.amdhsa_private_segment_fixed_size 0
		.amdhsa_kernarg_size 32
		.amdhsa_user_sgpr_count 2
		.amdhsa_user_sgpr_dispatch_ptr 0
		.amdhsa_user_sgpr_queue_ptr 0
		.amdhsa_user_sgpr_kernarg_segment_ptr 1
		.amdhsa_user_sgpr_dispatch_id 0
		.amdhsa_user_sgpr_kernarg_preload_length 0
		.amdhsa_user_sgpr_kernarg_preload_offset 0
		.amdhsa_user_sgpr_private_segment_size 0
		.amdhsa_wavefront_size32 1
		.amdhsa_uses_dynamic_stack 0
		.amdhsa_enable_private_segment 0
		.amdhsa_system_sgpr_workgroup_id_x 1
		.amdhsa_system_sgpr_workgroup_id_y 0
		.amdhsa_system_sgpr_workgroup_id_z 0
		.amdhsa_system_sgpr_workgroup_info 0
		.amdhsa_system_vgpr_workitem_id 0
		.amdhsa_next_free_vgpr 6
		.amdhsa_next_free_sgpr 8
		.amdhsa_named_barrier_count 0
		.amdhsa_reserve_vcc 1
		.amdhsa_float_round_mode_32 0
		.amdhsa_float_round_mode_16_64 0
		.amdhsa_float_denorm_mode_32 3
		.amdhsa_float_denorm_mode_16_64 3
		.amdhsa_fp16_overflow 0
		.amdhsa_memory_ordered 1
		.amdhsa_forward_progress 1
		.amdhsa_inst_pref_size 3
		.amdhsa_round_robin_scheduling 0
		.amdhsa_exception_fp_ieee_invalid_op 0
		.amdhsa_exception_fp_denorm_src 0
		.amdhsa_exception_fp_ieee_div_zero 0
		.amdhsa_exception_fp_ieee_overflow 0
		.amdhsa_exception_fp_ieee_underflow 0
		.amdhsa_exception_fp_ieee_inexact 0
		.amdhsa_exception_int_div_zero 0
	.end_amdhsa_kernel
	.section	.text._ZN9rocsparseL10abs_kernelILi256EfEEviiPKT0_lPS1_,"axG",@progbits,_ZN9rocsparseL10abs_kernelILi256EfEEviiPKT0_lPS1_,comdat
.Lfunc_end1:
	.size	_ZN9rocsparseL10abs_kernelILi256EfEEviiPKT0_lPS1_, .Lfunc_end1-_ZN9rocsparseL10abs_kernelILi256EfEEviiPKT0_lPS1_
                                        ; -- End function
	.set _ZN9rocsparseL10abs_kernelILi256EfEEviiPKT0_lPS1_.num_vgpr, 6
	.set _ZN9rocsparseL10abs_kernelILi256EfEEviiPKT0_lPS1_.num_agpr, 0
	.set _ZN9rocsparseL10abs_kernelILi256EfEEviiPKT0_lPS1_.numbered_sgpr, 8
	.set _ZN9rocsparseL10abs_kernelILi256EfEEviiPKT0_lPS1_.num_named_barrier, 0
	.set _ZN9rocsparseL10abs_kernelILi256EfEEviiPKT0_lPS1_.private_seg_size, 0
	.set _ZN9rocsparseL10abs_kernelILi256EfEEviiPKT0_lPS1_.uses_vcc, 1
	.set _ZN9rocsparseL10abs_kernelILi256EfEEviiPKT0_lPS1_.uses_flat_scratch, 0
	.set _ZN9rocsparseL10abs_kernelILi256EfEEviiPKT0_lPS1_.has_dyn_sized_stack, 0
	.set _ZN9rocsparseL10abs_kernelILi256EfEEviiPKT0_lPS1_.has_recursion, 0
	.set _ZN9rocsparseL10abs_kernelILi256EfEEviiPKT0_lPS1_.has_indirect_call, 0
	.section	.AMDGPU.csdata,"",@progbits
; Kernel info:
; codeLenInByte = 372
; TotalNumSgprs: 10
; NumVgprs: 6
; ScratchSize: 0
; MemoryBound: 0
; FloatMode: 240
; IeeeMode: 1
; LDSByteSize: 0 bytes/workgroup (compile time only)
; SGPRBlocks: 0
; VGPRBlocks: 0
; NumSGPRsForWavesPerEU: 10
; NumVGPRsForWavesPerEU: 6
; NamedBarCnt: 0
; Occupancy: 16
; WaveLimiterHint : 0
; COMPUTE_PGM_RSRC2:SCRATCH_EN: 0
; COMPUTE_PGM_RSRC2:USER_SGPR: 2
; COMPUTE_PGM_RSRC2:TRAP_HANDLER: 0
; COMPUTE_PGM_RSRC2:TGID_X_EN: 1
; COMPUTE_PGM_RSRC2:TGID_Y_EN: 0
; COMPUTE_PGM_RSRC2:TGID_Z_EN: 0
; COMPUTE_PGM_RSRC2:TIDIG_COMP_CNT: 0
	.section	.text._ZN9rocsparseL27prune_dense2csr_nnz_kernel2ILi64ELi16EfEEviiPKT1_lS3_Pi,"axG",@progbits,_ZN9rocsparseL27prune_dense2csr_nnz_kernel2ILi64ELi16EfEEviiPKT1_lS3_Pi,comdat
	.globl	_ZN9rocsparseL27prune_dense2csr_nnz_kernel2ILi64ELi16EfEEviiPKT1_lS3_Pi ; -- Begin function _ZN9rocsparseL27prune_dense2csr_nnz_kernel2ILi64ELi16EfEEviiPKT1_lS3_Pi
	.p2align	8
	.type	_ZN9rocsparseL27prune_dense2csr_nnz_kernel2ILi64ELi16EfEEviiPKT1_lS3_Pi,@function
_ZN9rocsparseL27prune_dense2csr_nnz_kernel2ILi64ELi16EfEEviiPKT1_lS3_Pi: ; @_ZN9rocsparseL27prune_dense2csr_nnz_kernel2ILi64ELi16EfEEviiPKT1_lS3_Pi
; %bb.0:
	s_clause 0x2
	s_load_b32 s2, s[0:1], 0x34
	s_load_b256 s[4:11], s[0:1], 0x0
	s_load_b64 s[12:13], s[0:1], 0x20
	v_and_b32_e32 v3, 0x3ff, v0
	v_bfe_u32 v0, v0, 10, 10
	s_wait_xcnt 0x0
	s_bfe_u32 s1, ttmp6, 0x4000c
	s_and_b32 s0, ttmp6, 15
	s_add_co_i32 s1, s1, 1
	s_getreg_b32 s3, hwreg(HW_REG_IB_STS2, 6, 4)
	s_mul_i32 s1, ttmp9, s1
	s_mov_b32 s18, 0
	s_add_co_i32 s0, s0, s1
	s_mov_b32 s17, exec_lo
	s_wait_kmcnt 0x0
	s_and_b32 s2, s2, 0xffff
	s_load_b32 s15, s[10:11], 0x0
	v_mad_u32_u24 v0, v0, s2, v3
	v_mov_b32_e32 v2, 0
	s_cmp_eq_u32 s3, 0
	s_cselect_b32 s0, ttmp9, s0
	s_delay_alu instid0(VALU_DEP_1) | instskip(SKIP_3) | instid1(VALU_DEP_2)
	v_dual_lshrrev_b32 v3, 4, v0 :: v_dual_mov_b32 v1, v2
	v_and_b32_e32 v5, 63, v0
	s_lshl_b32 s14, s0, 8
	s_ashr_i32 s1, s5, 31
	v_and_b32_e32 v6, 0x7ffffc, v3
	s_lshr_b32 s1, s1, 26
	v_dual_mov_b32 v4, v2 :: v_dual_bitop2_b32 v8, s14, v5 bitop3:0x54
	v_mov_b32_e32 v3, v2
	s_add_co_i32 s16, s5, s1
	s_delay_alu instid0(VALU_DEP_2) | instskip(SKIP_3) | instid1(SALU_CYCLE_1)
	v_or_b32_e32 v30, 64, v8
	v_or_b32_e32 v29, 0x80, v8
	;; [unrolled: 1-line block ×3, first 2 shown]
	s_and_not1_b32 s16, s16, 63
	v_cmpx_gt_i32_e64 s16, v6
	s_cbranch_execz .LBB2_12
; %bb.1:
	v_dual_mov_b32 v11, v2 :: v_dual_lshrrev_b32 v10, 6, v0
	v_cmp_gt_i32_e64 s0, s4, v30
	v_cmp_gt_i32_e64 s1, s4, v29
	;; [unrolled: 1-line block ×3, first 2 shown]
	s_delay_alu instid0(VALU_DEP_4) | instskip(SKIP_3) | instid1(VALU_DEP_4)
	v_dual_lshlrev_b32 v1, 2, v10 :: v_dual_mov_b32 v13, v2
	v_mov_b32_e32 v15, v2
	v_mul_u64_e32 v[16:17], s[8:9], v[10:11]
	v_add_nc_u32_e32 v10, s14, v5
	v_or_b32_e32 v12, 2, v1
	v_dual_mov_b32 v4, v2 :: v_dual_bitop2_b32 v14, 3, v1 bitop3:0x54
	v_mov_b32_e32 v3, v2
	s_wait_xcnt 0x0
	s_lshl_b64 s[10:11], s[8:9], 8
	v_mul_u64_e32 v[18:19], s[8:9], v[12:13]
	v_mad_nc_u64_u32 v[12:13], s8, v1, s[8:9]
	v_cmp_gt_i32_e32 vcc_lo, s4, v8
	s_delay_alu instid0(VALU_DEP_2) | instskip(SKIP_2) | instid1(VALU_DEP_2)
	v_mad_u32 v13, s9, v1, v13
	v_dual_mov_b32 v1, v2 :: v_dual_ashrrev_i32 v11, 31, v10
	v_mul_u64_e32 v[20:21], s[8:9], v[14:15]
	v_lshlrev_b64_e32 v[10:11], 2, v[10:11]
	s_delay_alu instid0(VALU_DEP_4)
	v_lshl_add_u64 v[12:13], v[12:13], 2, s[6:7]
	v_lshl_add_u64 v[14:15], v[16:17], 4, s[6:7]
	v_lshl_add_u64 v[16:17], v[18:19], 2, s[6:7]
	v_lshl_add_u64 v[18:19], v[20:21], 2, s[6:7]
	s_branch .LBB2_3
.LBB2_2:                                ;   in Loop: Header=BB2_3 Depth=1
	s_or_b32 exec_lo, exec_lo, s19
	v_add_nc_u32_e32 v6, 64, v6
	v_add_nc_u64_e32 v[16:17], s[10:11], v[16:17]
	v_add_nc_u64_e32 v[18:19], s[10:11], v[18:19]
	;; [unrolled: 1-line block ×4, first 2 shown]
	v_cmp_le_i32_e64 s3, s16, v6
	s_or_b32 s18, s3, s18
	s_delay_alu instid0(SALU_CYCLE_1)
	s_and_not1_b32 exec_lo, exec_lo, s18
	s_cbranch_execz .LBB2_11
.LBB2_3:                                ; =>This Inner Loop Header: Depth=1
	s_delay_alu instid0(VALU_DEP_3)
	v_add_nc_u64_e32 v[20:21], v[14:15], v[10:11]
	v_add_nc_u64_e32 v[24:25], v[12:13], v[10:11]
	;; [unrolled: 1-line block ×4, first 2 shown]
	s_and_saveexec_b32 s19, vcc_lo
	s_cbranch_execnz .LBB2_7
; %bb.4:                                ;   in Loop: Header=BB2_3 Depth=1
	s_or_b32 exec_lo, exec_lo, s19
	s_and_saveexec_b32 s19, s0
	s_cbranch_execnz .LBB2_8
.LBB2_5:                                ;   in Loop: Header=BB2_3 Depth=1
	s_or_b32 exec_lo, exec_lo, s19
	s_and_saveexec_b32 s19, s1
	s_cbranch_execnz .LBB2_9
.LBB2_6:                                ;   in Loop: Header=BB2_3 Depth=1
	s_or_b32 exec_lo, exec_lo, s19
	s_and_saveexec_b32 s19, s2
	s_cbranch_execz .LBB2_2
	s_branch .LBB2_10
.LBB2_7:                                ;   in Loop: Header=BB2_3 Depth=1
	global_load_b32 v7, v[20:21], off
	global_load_b32 v9, v[24:25], off
	;; [unrolled: 1-line block ×4, first 2 shown]
	s_wait_loadcnt 0x3
	s_wait_kmcnt 0x0
	v_cmp_gt_f32_e64 s3, |v7|, s15
	s_delay_alu instid0(VALU_DEP_1) | instskip(SKIP_2) | instid1(VALU_DEP_1)
	v_cndmask_b32_e64 v7, 0, 1, s3
	s_wait_loadcnt 0x2
	v_cmp_gt_f32_e64 s3, |v9|, s15
	v_add_co_ci_u32_e64 v2, null, v2, v7, s3
	s_wait_loadcnt 0x1
	v_cmp_gt_f32_e64 s3, |v31|, s15
	s_delay_alu instid0(VALU_DEP_1) | instskip(SKIP_2) | instid1(VALU_DEP_1)
	v_cndmask_b32_e64 v7, 0, 1, s3
	s_wait_loadcnt 0x0
	v_cmp_gt_f32_e64 s3, |v32|, s15
	v_add_co_ci_u32_e64 v2, null, v2, v7, s3
	s_or_b32 exec_lo, exec_lo, s19
	s_and_saveexec_b32 s19, s0
	s_cbranch_execz .LBB2_5
.LBB2_8:                                ;   in Loop: Header=BB2_3 Depth=1
	global_load_b32 v7, v[20:21], off offset:256
	global_load_b32 v9, v[24:25], off offset:256
	;; [unrolled: 1-line block ×4, first 2 shown]
	s_wait_loadcnt 0x3
	s_wait_kmcnt 0x0
	v_cmp_gt_f32_e64 s3, |v7|, s15
	s_delay_alu instid0(VALU_DEP_1) | instskip(SKIP_2) | instid1(VALU_DEP_1)
	v_cndmask_b32_e64 v7, 0, 1, s3
	s_wait_loadcnt 0x2
	v_cmp_gt_f32_e64 s3, |v9|, s15
	v_add_co_ci_u32_e64 v1, null, v1, v7, s3
	s_wait_loadcnt 0x1
	v_cmp_gt_f32_e64 s3, |v31|, s15
	s_delay_alu instid0(VALU_DEP_1) | instskip(SKIP_2) | instid1(VALU_DEP_1)
	v_cndmask_b32_e64 v7, 0, 1, s3
	s_wait_loadcnt 0x0
	v_cmp_gt_f32_e64 s3, |v32|, s15
	v_add_co_ci_u32_e64 v1, null, v1, v7, s3
	s_or_b32 exec_lo, exec_lo, s19
	s_and_saveexec_b32 s19, s1
	s_cbranch_execz .LBB2_6
.LBB2_9:                                ;   in Loop: Header=BB2_3 Depth=1
	global_load_b32 v7, v[20:21], off offset:512
	global_load_b32 v9, v[24:25], off offset:512
	;; [unrolled: 1-line block ×4, first 2 shown]
	s_wait_loadcnt 0x3
	s_wait_kmcnt 0x0
	v_cmp_gt_f32_e64 s3, |v7|, s15
	s_delay_alu instid0(VALU_DEP_1) | instskip(SKIP_2) | instid1(VALU_DEP_1)
	v_cndmask_b32_e64 v7, 0, 1, s3
	s_wait_loadcnt 0x2
	v_cmp_gt_f32_e64 s3, |v9|, s15
	v_add_co_ci_u32_e64 v4, null, v4, v7, s3
	s_wait_loadcnt 0x1
	v_cmp_gt_f32_e64 s3, |v31|, s15
	s_delay_alu instid0(VALU_DEP_1) | instskip(SKIP_2) | instid1(VALU_DEP_1)
	v_cndmask_b32_e64 v7, 0, 1, s3
	s_wait_loadcnt 0x0
	v_cmp_gt_f32_e64 s3, |v32|, s15
	v_add_co_ci_u32_e64 v4, null, v4, v7, s3
	s_or_b32 exec_lo, exec_lo, s19
	s_and_saveexec_b32 s19, s2
	s_cbranch_execz .LBB2_2
.LBB2_10:                               ;   in Loop: Header=BB2_3 Depth=1
	global_load_b32 v7, v[20:21], off offset:768
	global_load_b32 v9, v[24:25], off offset:768
	;; [unrolled: 1-line block ×4, first 2 shown]
	s_wait_loadcnt 0x3
	s_wait_kmcnt 0x0
	v_cmp_gt_f32_e64 s3, |v7|, s15
	s_delay_alu instid0(VALU_DEP_1) | instskip(SKIP_2) | instid1(VALU_DEP_1)
	v_cndmask_b32_e64 v7, 0, 1, s3
	s_wait_loadcnt 0x2
	v_cmp_gt_f32_e64 s3, |v9|, s15
	v_add_co_ci_u32_e64 v3, null, v3, v7, s3
	s_wait_loadcnt 0x1
	v_cmp_gt_f32_e64 s3, |v31|, s15
	s_delay_alu instid0(VALU_DEP_1) | instskip(SKIP_2) | instid1(VALU_DEP_1)
	v_cndmask_b32_e64 v7, 0, 1, s3
	s_wait_loadcnt 0x0
	v_cmp_gt_f32_e64 s3, |v32|, s15
	v_add_co_ci_u32_e64 v3, null, v3, v7, s3
	s_branch .LBB2_2
.LBB2_11:
	s_or_b32 exec_lo, exec_lo, s18
.LBB2_12:
	s_delay_alu instid0(SALU_CYCLE_1) | instskip(SKIP_1) | instid1(SALU_CYCLE_1)
	s_or_b32 exec_lo, exec_lo, s17
	s_sub_co_i32 s0, s5, s16
	s_cmp_lt_i32 s0, 1
	s_cbranch_scc1 .LBB2_54
; %bb.13:
	v_ashrrev_i32_e32 v9, 31, v8
	s_mov_b32 s0, exec_lo
	v_cmpx_gt_i32_e64 s4, v8
	s_cbranch_execnz .LBB2_17
; %bb.14:
	s_or_b32 exec_lo, exec_lo, s0
	s_delay_alu instid0(SALU_CYCLE_1)
	s_mov_b32 s0, exec_lo
	v_cmpx_gt_i32_e64 s4, v30
	s_cbranch_execnz .LBB2_26
.LBB2_15:
	s_or_b32 exec_lo, exec_lo, s0
	s_delay_alu instid0(SALU_CYCLE_1)
	s_mov_b32 s0, exec_lo
	v_cmpx_gt_i32_e64 s4, v29
	s_cbranch_execnz .LBB2_35
.LBB2_16:
	s_or_b32 exec_lo, exec_lo, s0
	s_delay_alu instid0(SALU_CYCLE_1)
	s_mov_b32 s0, exec_lo
	v_cmpx_gt_i32_e64 s4, v28
	s_cbranch_execnz .LBB2_44
	s_branch .LBB2_53
.LBB2_17:
	s_delay_alu instid0(VALU_DEP_2)
	v_lshl_add_u64 v[10:11], v[8:9], 2, s[6:7]
	s_mov_b32 s1, exec_lo
	v_cmpx_gt_i32_e64 s5, v6
	s_cbranch_execz .LBB2_19
; %bb.18:
	v_mov_b32_e32 v7, 0
	s_delay_alu instid0(VALU_DEP_1) | instskip(NEXT) | instid1(VALU_DEP_1)
	v_mul_u64_e32 v[12:13], s[8:9], v[6:7]
	v_lshl_add_u64 v[12:13], v[12:13], 2, v[10:11]
	global_load_b32 v7, v[12:13], off
	s_wait_loadcnt 0x0
	s_wait_kmcnt 0x0
	v_cmp_gt_f32_e64 vcc_lo, |v7|, s15
	s_delay_alu instid0(VALU_DEP_1)
	v_add_co_ci_u32_e64 v2, null, 0, v2, vcc_lo
.LBB2_19:
	s_or_b32 exec_lo, exec_lo, s1
	v_or_b32_e32 v12, 1, v6
	s_mov_b32 s1, exec_lo
	s_delay_alu instid0(VALU_DEP_1)
	v_cmpx_gt_i32_e64 s5, v12
	s_cbranch_execz .LBB2_21
; %bb.20:
	v_mov_b32_e32 v13, 0
	s_delay_alu instid0(VALU_DEP_1) | instskip(NEXT) | instid1(VALU_DEP_1)
	v_mul_u64_e32 v[12:13], s[8:9], v[12:13]
	v_lshl_add_u64 v[12:13], v[12:13], 2, v[10:11]
	global_load_b32 v7, v[12:13], off
	s_wait_loadcnt 0x0
	s_wait_kmcnt 0x0
	v_cmp_gt_f32_e64 vcc_lo, |v7|, s15
	s_delay_alu instid0(VALU_DEP_1)
	v_add_co_ci_u32_e64 v2, null, 0, v2, vcc_lo
.LBB2_21:
	s_or_b32 exec_lo, exec_lo, s1
	v_or_b32_e32 v12, 2, v6
	s_mov_b32 s1, exec_lo
	s_delay_alu instid0(VALU_DEP_1)
	;; [unrolled: 18-line block ×3, first 2 shown]
	v_cmpx_gt_i32_e64 s5, v12
	s_cbranch_execz .LBB2_25
; %bb.24:
	v_mov_b32_e32 v13, 0
	s_delay_alu instid0(VALU_DEP_1) | instskip(NEXT) | instid1(VALU_DEP_1)
	v_mul_u64_e32 v[12:13], s[8:9], v[12:13]
	v_lshl_add_u64 v[10:11], v[12:13], 2, v[10:11]
	global_load_b32 v7, v[10:11], off
	s_wait_loadcnt 0x0
	s_wait_kmcnt 0x0
	v_cmp_gt_f32_e64 vcc_lo, |v7|, s15
	s_delay_alu instid0(VALU_DEP_1)
	v_add_co_ci_u32_e64 v2, null, 0, v2, vcc_lo
.LBB2_25:
	s_or_b32 exec_lo, exec_lo, s1
	s_delay_alu instid0(SALU_CYCLE_1) | instskip(NEXT) | instid1(SALU_CYCLE_1)
	s_or_b32 exec_lo, exec_lo, s0
	s_mov_b32 s0, exec_lo
	v_cmpx_gt_i32_e64 s4, v30
	s_cbranch_execz .LBB2_15
.LBB2_26:
	v_lshl_add_u64 v[10:11], v[8:9], 2, s[6:7]
	s_mov_b32 s1, exec_lo
	v_cmpx_gt_i32_e64 s5, v6
	s_cbranch_execz .LBB2_28
; %bb.27:
	v_mov_b32_e32 v7, 0
	s_delay_alu instid0(VALU_DEP_1) | instskip(NEXT) | instid1(VALU_DEP_1)
	v_mul_u64_e32 v[12:13], s[8:9], v[6:7]
	v_lshl_add_u64 v[12:13], v[12:13], 2, v[10:11]
	global_load_b32 v7, v[12:13], off offset:256
	s_wait_loadcnt 0x0
	s_wait_kmcnt 0x0
	v_cmp_gt_f32_e64 vcc_lo, |v7|, s15
	s_delay_alu instid0(VALU_DEP_1)
	v_add_co_ci_u32_e64 v1, null, 0, v1, vcc_lo
.LBB2_28:
	s_or_b32 exec_lo, exec_lo, s1
	v_or_b32_e32 v12, 1, v6
	s_mov_b32 s1, exec_lo
	s_delay_alu instid0(VALU_DEP_1)
	v_cmpx_gt_i32_e64 s5, v12
	s_cbranch_execz .LBB2_30
; %bb.29:
	v_mov_b32_e32 v13, 0
	s_delay_alu instid0(VALU_DEP_1) | instskip(NEXT) | instid1(VALU_DEP_1)
	v_mul_u64_e32 v[12:13], s[8:9], v[12:13]
	v_lshl_add_u64 v[12:13], v[12:13], 2, v[10:11]
	global_load_b32 v7, v[12:13], off offset:256
	s_wait_loadcnt 0x0
	s_wait_kmcnt 0x0
	v_cmp_gt_f32_e64 vcc_lo, |v7|, s15
	s_delay_alu instid0(VALU_DEP_1)
	v_add_co_ci_u32_e64 v1, null, 0, v1, vcc_lo
.LBB2_30:
	s_or_b32 exec_lo, exec_lo, s1
	v_or_b32_e32 v12, 2, v6
	s_mov_b32 s1, exec_lo
	s_delay_alu instid0(VALU_DEP_1)
	;; [unrolled: 18-line block ×3, first 2 shown]
	v_cmpx_gt_i32_e64 s5, v12
	s_cbranch_execz .LBB2_34
; %bb.33:
	v_mov_b32_e32 v13, 0
	s_delay_alu instid0(VALU_DEP_1) | instskip(NEXT) | instid1(VALU_DEP_1)
	v_mul_u64_e32 v[12:13], s[8:9], v[12:13]
	v_lshl_add_u64 v[10:11], v[12:13], 2, v[10:11]
	global_load_b32 v7, v[10:11], off offset:256
	s_wait_loadcnt 0x0
	s_wait_kmcnt 0x0
	v_cmp_gt_f32_e64 vcc_lo, |v7|, s15
	s_delay_alu instid0(VALU_DEP_1)
	v_add_co_ci_u32_e64 v1, null, 0, v1, vcc_lo
.LBB2_34:
	s_or_b32 exec_lo, exec_lo, s1
	s_delay_alu instid0(SALU_CYCLE_1) | instskip(NEXT) | instid1(SALU_CYCLE_1)
	s_or_b32 exec_lo, exec_lo, s0
	s_mov_b32 s0, exec_lo
	v_cmpx_gt_i32_e64 s4, v29
	s_cbranch_execz .LBB2_16
.LBB2_35:
	v_lshl_add_u64 v[10:11], v[8:9], 2, s[6:7]
	s_mov_b32 s1, exec_lo
	v_cmpx_gt_i32_e64 s5, v6
	s_cbranch_execz .LBB2_37
; %bb.36:
	v_mov_b32_e32 v7, 0
	s_delay_alu instid0(VALU_DEP_1) | instskip(NEXT) | instid1(VALU_DEP_1)
	v_mul_u64_e32 v[12:13], s[8:9], v[6:7]
	v_lshl_add_u64 v[12:13], v[12:13], 2, v[10:11]
	global_load_b32 v7, v[12:13], off offset:512
	s_wait_loadcnt 0x0
	s_wait_kmcnt 0x0
	v_cmp_gt_f32_e64 vcc_lo, |v7|, s15
	s_delay_alu instid0(VALU_DEP_1)
	v_add_co_ci_u32_e64 v4, null, 0, v4, vcc_lo
.LBB2_37:
	s_or_b32 exec_lo, exec_lo, s1
	v_or_b32_e32 v12, 1, v6
	s_mov_b32 s1, exec_lo
	s_delay_alu instid0(VALU_DEP_1)
	v_cmpx_gt_i32_e64 s5, v12
	s_cbranch_execz .LBB2_39
; %bb.38:
	v_mov_b32_e32 v13, 0
	s_delay_alu instid0(VALU_DEP_1) | instskip(NEXT) | instid1(VALU_DEP_1)
	v_mul_u64_e32 v[12:13], s[8:9], v[12:13]
	v_lshl_add_u64 v[12:13], v[12:13], 2, v[10:11]
	global_load_b32 v7, v[12:13], off offset:512
	s_wait_loadcnt 0x0
	s_wait_kmcnt 0x0
	v_cmp_gt_f32_e64 vcc_lo, |v7|, s15
	s_delay_alu instid0(VALU_DEP_1)
	v_add_co_ci_u32_e64 v4, null, 0, v4, vcc_lo
.LBB2_39:
	s_or_b32 exec_lo, exec_lo, s1
	v_or_b32_e32 v12, 2, v6
	s_mov_b32 s1, exec_lo
	s_delay_alu instid0(VALU_DEP_1)
	;; [unrolled: 18-line block ×3, first 2 shown]
	v_cmpx_gt_i32_e64 s5, v12
	s_cbranch_execz .LBB2_43
; %bb.42:
	v_mov_b32_e32 v13, 0
	s_delay_alu instid0(VALU_DEP_1) | instskip(NEXT) | instid1(VALU_DEP_1)
	v_mul_u64_e32 v[12:13], s[8:9], v[12:13]
	v_lshl_add_u64 v[10:11], v[12:13], 2, v[10:11]
	global_load_b32 v7, v[10:11], off offset:512
	s_wait_loadcnt 0x0
	s_wait_kmcnt 0x0
	v_cmp_gt_f32_e64 vcc_lo, |v7|, s15
	s_delay_alu instid0(VALU_DEP_1)
	v_add_co_ci_u32_e64 v4, null, 0, v4, vcc_lo
.LBB2_43:
	s_or_b32 exec_lo, exec_lo, s1
	s_delay_alu instid0(SALU_CYCLE_1) | instskip(NEXT) | instid1(SALU_CYCLE_1)
	s_or_b32 exec_lo, exec_lo, s0
	s_mov_b32 s0, exec_lo
	v_cmpx_gt_i32_e64 s4, v28
	s_cbranch_execz .LBB2_53
.LBB2_44:
	v_lshl_add_u64 v[8:9], v[8:9], 2, s[6:7]
	s_mov_b32 s1, exec_lo
	v_cmpx_gt_i32_e64 s5, v6
	s_cbranch_execz .LBB2_46
; %bb.45:
	v_mov_b32_e32 v7, 0
	s_delay_alu instid0(VALU_DEP_1) | instskip(NEXT) | instid1(VALU_DEP_1)
	v_mul_u64_e32 v[10:11], s[8:9], v[6:7]
	v_lshl_add_u64 v[10:11], v[10:11], 2, v[8:9]
	global_load_b32 v7, v[10:11], off offset:768
	s_wait_loadcnt 0x0
	s_wait_kmcnt 0x0
	v_cmp_gt_f32_e64 vcc_lo, |v7|, s15
	s_delay_alu instid0(VALU_DEP_1)
	v_add_co_ci_u32_e64 v3, null, 0, v3, vcc_lo
.LBB2_46:
	s_or_b32 exec_lo, exec_lo, s1
	v_or_b32_e32 v10, 1, v6
	s_mov_b32 s1, exec_lo
	s_delay_alu instid0(VALU_DEP_1)
	v_cmpx_gt_i32_e64 s5, v10
	s_cbranch_execz .LBB2_48
; %bb.47:
	v_mov_b32_e32 v11, 0
	s_delay_alu instid0(VALU_DEP_1) | instskip(NEXT) | instid1(VALU_DEP_1)
	v_mul_u64_e32 v[10:11], s[8:9], v[10:11]
	v_lshl_add_u64 v[10:11], v[10:11], 2, v[8:9]
	global_load_b32 v7, v[10:11], off offset:768
	s_wait_loadcnt 0x0
	s_wait_kmcnt 0x0
	v_cmp_gt_f32_e64 vcc_lo, |v7|, s15
	s_delay_alu instid0(VALU_DEP_1)
	v_add_co_ci_u32_e64 v3, null, 0, v3, vcc_lo
.LBB2_48:
	s_or_b32 exec_lo, exec_lo, s1
	v_or_b32_e32 v10, 2, v6
	s_mov_b32 s1, exec_lo
	s_delay_alu instid0(VALU_DEP_1)
	;; [unrolled: 18-line block ×3, first 2 shown]
	v_cmpx_gt_i32_e64 s5, v6
	s_cbranch_execz .LBB2_52
; %bb.51:
	v_mov_b32_e32 v7, 0
	s_delay_alu instid0(VALU_DEP_1) | instskip(NEXT) | instid1(VALU_DEP_1)
	v_mul_u64_e32 v[6:7], s[8:9], v[6:7]
	v_lshl_add_u64 v[6:7], v[6:7], 2, v[8:9]
	global_load_b32 v6, v[6:7], off offset:768
	s_wait_loadcnt 0x0
	s_wait_kmcnt 0x0
	v_cmp_gt_f32_e64 vcc_lo, |v6|, s15
	s_delay_alu instid0(VALU_DEP_1)
	v_add_co_ci_u32_e64 v3, null, 0, v3, vcc_lo
.LBB2_52:
	s_or_b32 exec_lo, exec_lo, s1
.LBB2_53:
	s_delay_alu instid0(SALU_CYCLE_1)
	s_or_b32 exec_lo, exec_lo, s0
.LBB2_54:
	v_dual_lshlrev_b32 v6, 4, v0 :: v_dual_lshlrev_b32 v5, 2, v5
	s_mov_b32 s0, exec_lo
	s_delay_alu instid0(VALU_DEP_1)
	v_and_or_b32 v5, 0x7ffffc00, v6, v5
	ds_store_2addr_stride64_b32 v5, v2, v1 offset1:1
	ds_store_2addr_stride64_b32 v5, v4, v3 offset0:2 offset1:3
	s_wait_dscnt 0x0
	s_barrier_signal -1
	s_barrier_wait -1
	v_cmpx_gt_u32_e32 0x100, v0
	s_cbranch_execz .LBB2_57
; %bb.55:
	v_dual_lshlrev_b32 v10, 2, v0 :: v_dual_bitop2_b32 v0, s14, v0 bitop3:0x54
	ds_load_2addr_stride64_b32 v[2:3], v10 offset1:4
	ds_load_2addr_stride64_b32 v[4:5], v10 offset0:8 offset1:12
	ds_load_2addr_stride64_b32 v[6:7], v10 offset0:16 offset1:20
	;; [unrolled: 1-line block ×3, first 2 shown]
	v_cmp_gt_i32_e32 vcc_lo, s4, v0
	s_wait_dscnt 0x3
	v_add_nc_u32_e32 v1, v3, v2
	ds_load_2addr_stride64_b32 v[2:3], v10 offset0:32 offset1:36
	s_wait_dscnt 0x3
	v_add3_u32 v1, v1, v4, v5
	ds_load_2addr_stride64_b32 v[4:5], v10 offset0:40 offset1:44
	s_wait_dscnt 0x3
	v_add3_u32 v1, v1, v6, v7
	;; [unrolled: 3-line block ×4, first 2 shown]
	s_wait_dscnt 0x2
	s_delay_alu instid0(VALU_DEP_1) | instskip(SKIP_1) | instid1(VALU_DEP_1)
	v_add3_u32 v1, v1, v4, v5
	s_wait_dscnt 0x1
	v_add3_u32 v1, v1, v6, v7
	s_wait_dscnt 0x0
	s_delay_alu instid0(VALU_DEP_1)
	v_add3_u32 v1, v1, v8, v9
	ds_store_b32 v10, v1
	s_and_b32 exec_lo, exec_lo, vcc_lo
	s_cbranch_execz .LBB2_57
; %bb.56:
	global_store_b32 v0, v1, s[12:13] scale_offset
.LBB2_57:
	s_endpgm
	.section	.rodata,"a",@progbits
	.p2align	6, 0x0
	.amdhsa_kernel _ZN9rocsparseL27prune_dense2csr_nnz_kernel2ILi64ELi16EfEEviiPKT1_lS3_Pi
		.amdhsa_group_segment_fixed_size 16384
		.amdhsa_private_segment_fixed_size 0
		.amdhsa_kernarg_size 296
		.amdhsa_user_sgpr_count 2
		.amdhsa_user_sgpr_dispatch_ptr 0
		.amdhsa_user_sgpr_queue_ptr 0
		.amdhsa_user_sgpr_kernarg_segment_ptr 1
		.amdhsa_user_sgpr_dispatch_id 0
		.amdhsa_user_sgpr_kernarg_preload_length 0
		.amdhsa_user_sgpr_kernarg_preload_offset 0
		.amdhsa_user_sgpr_private_segment_size 0
		.amdhsa_wavefront_size32 1
		.amdhsa_uses_dynamic_stack 0
		.amdhsa_enable_private_segment 0
		.amdhsa_system_sgpr_workgroup_id_x 1
		.amdhsa_system_sgpr_workgroup_id_y 0
		.amdhsa_system_sgpr_workgroup_id_z 0
		.amdhsa_system_sgpr_workgroup_info 0
		.amdhsa_system_vgpr_workitem_id 1
		.amdhsa_next_free_vgpr 33
		.amdhsa_next_free_sgpr 20
		.amdhsa_named_barrier_count 0
		.amdhsa_reserve_vcc 1
		.amdhsa_float_round_mode_32 0
		.amdhsa_float_round_mode_16_64 0
		.amdhsa_float_denorm_mode_32 3
		.amdhsa_float_denorm_mode_16_64 3
		.amdhsa_fp16_overflow 0
		.amdhsa_memory_ordered 1
		.amdhsa_forward_progress 1
		.amdhsa_inst_pref_size 24
		.amdhsa_round_robin_scheduling 0
		.amdhsa_exception_fp_ieee_invalid_op 0
		.amdhsa_exception_fp_denorm_src 0
		.amdhsa_exception_fp_ieee_div_zero 0
		.amdhsa_exception_fp_ieee_overflow 0
		.amdhsa_exception_fp_ieee_underflow 0
		.amdhsa_exception_fp_ieee_inexact 0
		.amdhsa_exception_int_div_zero 0
	.end_amdhsa_kernel
	.section	.text._ZN9rocsparseL27prune_dense2csr_nnz_kernel2ILi64ELi16EfEEviiPKT1_lS3_Pi,"axG",@progbits,_ZN9rocsparseL27prune_dense2csr_nnz_kernel2ILi64ELi16EfEEviiPKT1_lS3_Pi,comdat
.Lfunc_end2:
	.size	_ZN9rocsparseL27prune_dense2csr_nnz_kernel2ILi64ELi16EfEEviiPKT1_lS3_Pi, .Lfunc_end2-_ZN9rocsparseL27prune_dense2csr_nnz_kernel2ILi64ELi16EfEEviiPKT1_lS3_Pi
                                        ; -- End function
	.set _ZN9rocsparseL27prune_dense2csr_nnz_kernel2ILi64ELi16EfEEviiPKT1_lS3_Pi.num_vgpr, 33
	.set _ZN9rocsparseL27prune_dense2csr_nnz_kernel2ILi64ELi16EfEEviiPKT1_lS3_Pi.num_agpr, 0
	.set _ZN9rocsparseL27prune_dense2csr_nnz_kernel2ILi64ELi16EfEEviiPKT1_lS3_Pi.numbered_sgpr, 20
	.set _ZN9rocsparseL27prune_dense2csr_nnz_kernel2ILi64ELi16EfEEviiPKT1_lS3_Pi.num_named_barrier, 0
	.set _ZN9rocsparseL27prune_dense2csr_nnz_kernel2ILi64ELi16EfEEviiPKT1_lS3_Pi.private_seg_size, 0
	.set _ZN9rocsparseL27prune_dense2csr_nnz_kernel2ILi64ELi16EfEEviiPKT1_lS3_Pi.uses_vcc, 1
	.set _ZN9rocsparseL27prune_dense2csr_nnz_kernel2ILi64ELi16EfEEviiPKT1_lS3_Pi.uses_flat_scratch, 0
	.set _ZN9rocsparseL27prune_dense2csr_nnz_kernel2ILi64ELi16EfEEviiPKT1_lS3_Pi.has_dyn_sized_stack, 0
	.set _ZN9rocsparseL27prune_dense2csr_nnz_kernel2ILi64ELi16EfEEviiPKT1_lS3_Pi.has_recursion, 0
	.set _ZN9rocsparseL27prune_dense2csr_nnz_kernel2ILi64ELi16EfEEviiPKT1_lS3_Pi.has_indirect_call, 0
	.section	.AMDGPU.csdata,"",@progbits
; Kernel info:
; codeLenInByte = 3012
; TotalNumSgprs: 22
; NumVgprs: 33
; ScratchSize: 0
; MemoryBound: 0
; FloatMode: 240
; IeeeMode: 1
; LDSByteSize: 16384 bytes/workgroup (compile time only)
; SGPRBlocks: 0
; VGPRBlocks: 2
; NumSGPRsForWavesPerEU: 22
; NumVGPRsForWavesPerEU: 33
; NamedBarCnt: 0
; Occupancy: 16
; WaveLimiterHint : 0
; COMPUTE_PGM_RSRC2:SCRATCH_EN: 0
; COMPUTE_PGM_RSRC2:USER_SGPR: 2
; COMPUTE_PGM_RSRC2:TRAP_HANDLER: 0
; COMPUTE_PGM_RSRC2:TGID_X_EN: 1
; COMPUTE_PGM_RSRC2:TGID_Y_EN: 0
; COMPUTE_PGM_RSRC2:TGID_Z_EN: 0
; COMPUTE_PGM_RSRC2:TIDIG_COMP_CNT: 1
	.section	.text._ZN9rocsparseL10abs_kernelILi256EdEEviiPKT0_lPS1_,"axG",@progbits,_ZN9rocsparseL10abs_kernelILi256EdEEviiPKT0_lPS1_,comdat
	.globl	_ZN9rocsparseL10abs_kernelILi256EdEEviiPKT0_lPS1_ ; -- Begin function _ZN9rocsparseL10abs_kernelILi256EdEEviiPKT0_lPS1_
	.p2align	8
	.type	_ZN9rocsparseL10abs_kernelILi256EdEEviiPKT0_lPS1_,@function
_ZN9rocsparseL10abs_kernelILi256EdEEviiPKT0_lPS1_: ; @_ZN9rocsparseL10abs_kernelILi256EdEEviiPKT0_lPS1_
; %bb.0:
	s_load_b64 s[2:3], s[0:1], 0x0
	s_bfe_u32 s4, ttmp6, 0x4000c
	s_and_b32 s5, ttmp6, 15
	s_add_co_i32 s4, s4, 1
	s_getreg_b32 s6, hwreg(HW_REG_IB_STS2, 6, 4)
	s_mul_i32 s4, ttmp9, s4
	s_delay_alu instid0(SALU_CYCLE_1) | instskip(SKIP_2) | instid1(SALU_CYCLE_1)
	s_add_co_i32 s5, s5, s4
	s_cmp_eq_u32 s6, 0
	s_cselect_b32 s4, ttmp9, s5
	v_lshl_or_b32 v0, s4, 8, v0
	s_wait_kmcnt 0x0
	s_mul_i32 s3, s3, s2
	s_delay_alu instid0(VALU_DEP_1) | instid1(SALU_CYCLE_1)
	v_cmp_gt_i32_e32 vcc_lo, s3, v0
	s_and_saveexec_b32 s3, vcc_lo
	s_cbranch_execz .LBB3_2
; %bb.1:
	s_abs_i32 s3, s2
	s_delay_alu instid0(SALU_CYCLE_1) | instskip(SKIP_1) | instid1(SALU_CYCLE_2)
	s_cvt_f32_u32 s4, s3
	s_sub_co_i32 s5, 0, s3
	v_rcp_iflag_f32_e32 v1, s4
	v_nop
	s_delay_alu instid0(TRANS32_DEP_1) | instskip(SKIP_2) | instid1(VALU_DEP_1)
	v_readfirstlane_b32 s4, v1
	v_sub_nc_u32_e32 v1, 0, v0
	s_mul_f32 s4, s4, 0x4f7ffffe
	v_max_i32_e32 v1, v0, v1
	s_delay_alu instid0(SALU_CYCLE_2) | instskip(NEXT) | instid1(SALU_CYCLE_3)
	s_cvt_u32_f32 s4, s4
	s_mul_i32 s5, s5, s4
	s_delay_alu instid0(SALU_CYCLE_1) | instskip(NEXT) | instid1(SALU_CYCLE_1)
	s_mul_hi_u32 s5, s4, s5
	s_add_co_i32 s4, s4, s5
	s_delay_alu instid0(SALU_CYCLE_1) | instskip(SKIP_1) | instid1(VALU_DEP_1)
	v_mul_hi_u32 v2, v1, s4
	s_load_b128 s[4:7], s[0:1], 0x8
	v_mul_lo_u32 v3, v2, s3
	s_wait_xcnt 0x0
	s_load_b64 s[0:1], s[0:1], 0x18
	s_delay_alu instid0(VALU_DEP_1) | instskip(NEXT) | instid1(VALU_DEP_1)
	v_dual_sub_nc_u32 v1, v1, v3 :: v_dual_add_nc_u32 v3, 1, v2
	v_cmp_le_u32_e32 vcc_lo, s3, v1
	s_delay_alu instid0(VALU_DEP_2) | instskip(SKIP_1) | instid1(VALU_DEP_1)
	v_dual_cndmask_b32 v2, v2, v3, vcc_lo :: v_dual_bitop2_b32 v3, s2, v0 bitop3:0x14
	v_subrev_nc_u32_e32 v4, s3, v1
	v_dual_cndmask_b32 v1, v1, v4 :: v_dual_add_nc_u32 v4, 1, v2
	s_delay_alu instid0(VALU_DEP_1) | instskip(NEXT) | instid1(VALU_DEP_2)
	v_cmp_le_u32_e32 vcc_lo, s3, v1
	v_dual_ashrrev_i32 v3, 31, v3 :: v_dual_cndmask_b32 v1, v2, v4, vcc_lo
	s_delay_alu instid0(VALU_DEP_1) | instskip(NEXT) | instid1(VALU_DEP_1)
	v_xor_b32_e32 v1, v1, v3
	v_sub_nc_u32_e32 v2, v1, v3
	s_delay_alu instid0(VALU_DEP_1) | instskip(SKIP_2) | instid1(VALU_DEP_2)
	v_ashrrev_i32_e32 v3, 31, v2
	v_mul_lo_u32 v1, v2, s2
	s_wait_kmcnt 0x0
	v_mul_u64_e32 v[4:5], s[6:7], v[2:3]
	s_delay_alu instid0(VALU_DEP_2) | instskip(NEXT) | instid1(VALU_DEP_1)
	v_sub_nc_u32_e32 v2, v0, v1
	v_ashrrev_i32_e32 v3, 31, v2
	s_delay_alu instid0(VALU_DEP_3) | instskip(NEXT) | instid1(VALU_DEP_1)
	v_lshl_add_u64 v[4:5], v[4:5], 3, s[4:5]
	v_lshl_add_u64 v[2:3], v[2:3], 3, v[4:5]
	global_load_b64 v[2:3], v[2:3], off
	s_wait_loadcnt 0x0
	v_cmp_gt_f64_e32 vcc_lo, 0, v[2:3]
	v_xor_b32_e32 v1, 0x80000000, v3
	s_delay_alu instid0(VALU_DEP_1)
	v_cndmask_b32_e32 v3, v3, v1, vcc_lo
	global_store_b64 v0, v[2:3], s[0:1] scale_offset
.LBB3_2:
	s_endpgm
	.section	.rodata,"a",@progbits
	.p2align	6, 0x0
	.amdhsa_kernel _ZN9rocsparseL10abs_kernelILi256EdEEviiPKT0_lPS1_
		.amdhsa_group_segment_fixed_size 0
		.amdhsa_private_segment_fixed_size 0
		.amdhsa_kernarg_size 32
		.amdhsa_user_sgpr_count 2
		.amdhsa_user_sgpr_dispatch_ptr 0
		.amdhsa_user_sgpr_queue_ptr 0
		.amdhsa_user_sgpr_kernarg_segment_ptr 1
		.amdhsa_user_sgpr_dispatch_id 0
		.amdhsa_user_sgpr_kernarg_preload_length 0
		.amdhsa_user_sgpr_kernarg_preload_offset 0
		.amdhsa_user_sgpr_private_segment_size 0
		.amdhsa_wavefront_size32 1
		.amdhsa_uses_dynamic_stack 0
		.amdhsa_enable_private_segment 0
		.amdhsa_system_sgpr_workgroup_id_x 1
		.amdhsa_system_sgpr_workgroup_id_y 0
		.amdhsa_system_sgpr_workgroup_id_z 0
		.amdhsa_system_sgpr_workgroup_info 0
		.amdhsa_system_vgpr_workitem_id 0
		.amdhsa_next_free_vgpr 6
		.amdhsa_next_free_sgpr 8
		.amdhsa_named_barrier_count 0
		.amdhsa_reserve_vcc 1
		.amdhsa_float_round_mode_32 0
		.amdhsa_float_round_mode_16_64 0
		.amdhsa_float_denorm_mode_32 3
		.amdhsa_float_denorm_mode_16_64 3
		.amdhsa_fp16_overflow 0
		.amdhsa_memory_ordered 1
		.amdhsa_forward_progress 1
		.amdhsa_inst_pref_size 3
		.amdhsa_round_robin_scheduling 0
		.amdhsa_exception_fp_ieee_invalid_op 0
		.amdhsa_exception_fp_denorm_src 0
		.amdhsa_exception_fp_ieee_div_zero 0
		.amdhsa_exception_fp_ieee_overflow 0
		.amdhsa_exception_fp_ieee_underflow 0
		.amdhsa_exception_fp_ieee_inexact 0
		.amdhsa_exception_int_div_zero 0
	.end_amdhsa_kernel
	.section	.text._ZN9rocsparseL10abs_kernelILi256EdEEviiPKT0_lPS1_,"axG",@progbits,_ZN9rocsparseL10abs_kernelILi256EdEEviiPKT0_lPS1_,comdat
.Lfunc_end3:
	.size	_ZN9rocsparseL10abs_kernelILi256EdEEviiPKT0_lPS1_, .Lfunc_end3-_ZN9rocsparseL10abs_kernelILi256EdEEviiPKT0_lPS1_
                                        ; -- End function
	.set _ZN9rocsparseL10abs_kernelILi256EdEEviiPKT0_lPS1_.num_vgpr, 6
	.set _ZN9rocsparseL10abs_kernelILi256EdEEviiPKT0_lPS1_.num_agpr, 0
	.set _ZN9rocsparseL10abs_kernelILi256EdEEviiPKT0_lPS1_.numbered_sgpr, 8
	.set _ZN9rocsparseL10abs_kernelILi256EdEEviiPKT0_lPS1_.num_named_barrier, 0
	.set _ZN9rocsparseL10abs_kernelILi256EdEEviiPKT0_lPS1_.private_seg_size, 0
	.set _ZN9rocsparseL10abs_kernelILi256EdEEviiPKT0_lPS1_.uses_vcc, 1
	.set _ZN9rocsparseL10abs_kernelILi256EdEEviiPKT0_lPS1_.uses_flat_scratch, 0
	.set _ZN9rocsparseL10abs_kernelILi256EdEEviiPKT0_lPS1_.has_dyn_sized_stack, 0
	.set _ZN9rocsparseL10abs_kernelILi256EdEEviiPKT0_lPS1_.has_recursion, 0
	.set _ZN9rocsparseL10abs_kernelILi256EdEEviiPKT0_lPS1_.has_indirect_call, 0
	.section	.AMDGPU.csdata,"",@progbits
; Kernel info:
; codeLenInByte = 380
; TotalNumSgprs: 10
; NumVgprs: 6
; ScratchSize: 0
; MemoryBound: 0
; FloatMode: 240
; IeeeMode: 1
; LDSByteSize: 0 bytes/workgroup (compile time only)
; SGPRBlocks: 0
; VGPRBlocks: 0
; NumSGPRsForWavesPerEU: 10
; NumVGPRsForWavesPerEU: 6
; NamedBarCnt: 0
; Occupancy: 16
; WaveLimiterHint : 0
; COMPUTE_PGM_RSRC2:SCRATCH_EN: 0
; COMPUTE_PGM_RSRC2:USER_SGPR: 2
; COMPUTE_PGM_RSRC2:TRAP_HANDLER: 0
; COMPUTE_PGM_RSRC2:TGID_X_EN: 1
; COMPUTE_PGM_RSRC2:TGID_Y_EN: 0
; COMPUTE_PGM_RSRC2:TGID_Z_EN: 0
; COMPUTE_PGM_RSRC2:TIDIG_COMP_CNT: 0
	.section	.text._ZN9rocsparseL27prune_dense2csr_nnz_kernel2ILi64ELi16EdEEviiPKT1_lS3_Pi,"axG",@progbits,_ZN9rocsparseL27prune_dense2csr_nnz_kernel2ILi64ELi16EdEEviiPKT1_lS3_Pi,comdat
	.globl	_ZN9rocsparseL27prune_dense2csr_nnz_kernel2ILi64ELi16EdEEviiPKT1_lS3_Pi ; -- Begin function _ZN9rocsparseL27prune_dense2csr_nnz_kernel2ILi64ELi16EdEEviiPKT1_lS3_Pi
	.p2align	8
	.type	_ZN9rocsparseL27prune_dense2csr_nnz_kernel2ILi64ELi16EdEEviiPKT1_lS3_Pi,@function
_ZN9rocsparseL27prune_dense2csr_nnz_kernel2ILi64ELi16EdEEviiPKT1_lS3_Pi: ; @_ZN9rocsparseL27prune_dense2csr_nnz_kernel2ILi64ELi16EdEEviiPKT1_lS3_Pi
; %bb.0:
	s_clause 0x2
	s_load_b32 s2, s[0:1], 0x34
	s_load_b256 s[4:11], s[0:1], 0x0
	s_load_b64 s[12:13], s[0:1], 0x20
	v_and_b32_e32 v3, 0x3ff, v0
	v_bfe_u32 v0, v0, 10, 10
	s_wait_xcnt 0x0
	s_bfe_u32 s1, ttmp6, 0x4000c
	s_and_b32 s0, ttmp6, 15
	s_add_co_i32 s1, s1, 1
	s_getreg_b32 s3, hwreg(HW_REG_IB_STS2, 6, 4)
	s_mul_i32 s1, ttmp9, s1
	s_mov_b32 s19, 0
	s_add_co_i32 s0, s0, s1
	s_mov_b32 s18, exec_lo
	s_wait_kmcnt 0x0
	s_and_b32 s2, s2, 0xffff
	s_load_b64 s[10:11], s[10:11], 0x0
	v_mad_u32_u24 v0, v0, s2, v3
	v_mov_b32_e32 v2, 0
	s_cmp_eq_u32 s3, 0
	s_cselect_b32 s0, ttmp9, s0
	s_delay_alu instid0(VALU_DEP_1) | instskip(SKIP_3) | instid1(VALU_DEP_2)
	v_dual_lshrrev_b32 v3, 4, v0 :: v_dual_mov_b32 v1, v2
	v_and_b32_e32 v5, 63, v0
	s_lshl_b32 s16, s0, 8
	s_ashr_i32 s1, s5, 31
	v_and_b32_e32 v6, 0x7ffffc, v3
	s_lshr_b32 s1, s1, 26
	v_dual_mov_b32 v4, v2 :: v_dual_bitop2_b32 v8, s16, v5 bitop3:0x54
	v_mov_b32_e32 v3, v2
	s_add_co_i32 s17, s5, s1
	s_delay_alu instid0(VALU_DEP_2) | instskip(SKIP_3) | instid1(SALU_CYCLE_1)
	v_or_b32_e32 v30, 64, v8
	v_or_b32_e32 v29, 0x80, v8
	;; [unrolled: 1-line block ×3, first 2 shown]
	s_and_not1_b32 s17, s17, 63
	v_cmpx_gt_i32_e64 s17, v6
	s_cbranch_execz .LBB4_12
; %bb.1:
	v_dual_mov_b32 v11, v2 :: v_dual_lshrrev_b32 v10, 6, v0
	v_cmp_gt_i32_e64 s0, s4, v30
	v_cmp_gt_i32_e64 s1, s4, v29
	;; [unrolled: 1-line block ×3, first 2 shown]
	s_delay_alu instid0(VALU_DEP_4) | instskip(SKIP_3) | instid1(VALU_DEP_3)
	v_dual_lshlrev_b32 v1, 2, v10 :: v_dual_mov_b32 v13, v2
	v_mov_b32_e32 v15, v2
	v_mul_u64_e32 v[10:11], s[8:9], v[10:11]
	s_lshl_b64 s[14:15], s[8:9], 9
	v_or_b32_e32 v12, 2, v1
	v_or_b32_e32 v14, 3, v1
	v_cmp_gt_i32_e32 vcc_lo, s4, v8
	v_dual_mov_b32 v4, v2 :: v_dual_mov_b32 v3, v2
	s_delay_alu instid0(VALU_DEP_4) | instskip(SKIP_1) | instid1(VALU_DEP_1)
	v_mul_u64_e32 v[16:17], s[8:9], v[12:13]
	v_mad_nc_u64_u32 v[12:13], s8, v1, s[8:9]
	v_mad_u32 v13, s9, v1, v13
	v_mov_b32_e32 v1, v2
	v_mul_u64_e32 v[18:19], s[8:9], v[14:15]
	v_add_nc_u32_e32 v14, s16, v5
	s_delay_alu instid0(VALU_DEP_1) | instskip(SKIP_2) | instid1(VALU_DEP_3)
	v_ashrrev_i32_e32 v15, 31, v14
	v_lshl_add_u64 v[12:13], v[12:13], 3, s[6:7]
	v_lshlrev_b64_e32 v[20:21], 5, v[10:11]
	v_lshlrev_b64_e32 v[10:11], 3, v[14:15]
	s_delay_alu instid0(VALU_DEP_2)
	v_add_nc_u64_e32 v[14:15], s[6:7], v[20:21]
	v_lshl_add_u64 v[16:17], v[16:17], 3, s[6:7]
	v_lshl_add_u64 v[18:19], v[18:19], 3, s[6:7]
	s_branch .LBB4_3
.LBB4_2:                                ;   in Loop: Header=BB4_3 Depth=1
	s_or_b32 exec_lo, exec_lo, s20
	v_add_nc_u32_e32 v6, 64, v6
	v_add_nc_u64_e32 v[16:17], s[14:15], v[16:17]
	v_add_nc_u64_e32 v[18:19], s[14:15], v[18:19]
	;; [unrolled: 1-line block ×4, first 2 shown]
	v_cmp_le_i32_e64 s3, s17, v6
	s_or_b32 s19, s3, s19
	s_delay_alu instid0(SALU_CYCLE_1)
	s_and_not1_b32 exec_lo, exec_lo, s19
	s_cbranch_execz .LBB4_11
.LBB4_3:                                ; =>This Inner Loop Header: Depth=1
	s_delay_alu instid0(VALU_DEP_3)
	v_add_nc_u64_e32 v[24:25], v[14:15], v[10:11]
	v_add_nc_u64_e32 v[20:21], v[12:13], v[10:11]
	;; [unrolled: 1-line block ×4, first 2 shown]
	s_and_saveexec_b32 s20, vcc_lo
	s_cbranch_execnz .LBB4_7
; %bb.4:                                ;   in Loop: Header=BB4_3 Depth=1
	s_or_b32 exec_lo, exec_lo, s20
	s_and_saveexec_b32 s20, s0
	s_cbranch_execnz .LBB4_8
.LBB4_5:                                ;   in Loop: Header=BB4_3 Depth=1
	s_or_b32 exec_lo, exec_lo, s20
	s_and_saveexec_b32 s20, s1
	s_cbranch_execnz .LBB4_9
.LBB4_6:                                ;   in Loop: Header=BB4_3 Depth=1
	s_or_b32 exec_lo, exec_lo, s20
	s_and_saveexec_b32 s20, s2
	s_cbranch_execz .LBB4_2
	s_branch .LBB4_10
.LBB4_7:                                ;   in Loop: Header=BB4_3 Depth=1
	global_load_b64 v[32:33], v[24:25], off
	global_load_b64 v[34:35], v[20:21], off
	;; [unrolled: 1-line block ×4, first 2 shown]
	s_wait_loadcnt 0x3
	s_wait_kmcnt 0x0
	v_cmp_gt_f64_e64 s3, |v[32:33]|, s[10:11]
	s_delay_alu instid0(VALU_DEP_1) | instskip(SKIP_2) | instid1(VALU_DEP_1)
	v_cndmask_b32_e64 v7, 0, 1, s3
	s_wait_loadcnt 0x2
	v_cmp_gt_f64_e64 s3, |v[34:35]|, s[10:11]
	v_add_co_ci_u32_e64 v2, null, v2, v7, s3
	s_wait_loadcnt 0x1
	v_cmp_gt_f64_e64 s3, |v[36:37]|, s[10:11]
	s_delay_alu instid0(VALU_DEP_1) | instskip(SKIP_2) | instid1(VALU_DEP_1)
	v_cndmask_b32_e64 v7, 0, 1, s3
	s_wait_loadcnt 0x0
	v_cmp_gt_f64_e64 s3, |v[38:39]|, s[10:11]
	v_add_co_ci_u32_e64 v2, null, v2, v7, s3
	s_or_b32 exec_lo, exec_lo, s20
	s_and_saveexec_b32 s20, s0
	s_cbranch_execz .LBB4_5
.LBB4_8:                                ;   in Loop: Header=BB4_3 Depth=1
	global_load_b64 v[32:33], v[24:25], off offset:512
	global_load_b64 v[34:35], v[20:21], off offset:512
	global_load_b64 v[36:37], v[22:23], off offset:512
	global_load_b64 v[38:39], v[26:27], off offset:512
	s_wait_loadcnt 0x3
	s_wait_kmcnt 0x0
	v_cmp_gt_f64_e64 s3, |v[32:33]|, s[10:11]
	s_delay_alu instid0(VALU_DEP_1) | instskip(SKIP_2) | instid1(VALU_DEP_1)
	v_cndmask_b32_e64 v7, 0, 1, s3
	s_wait_loadcnt 0x2
	v_cmp_gt_f64_e64 s3, |v[34:35]|, s[10:11]
	v_add_co_ci_u32_e64 v1, null, v1, v7, s3
	s_wait_loadcnt 0x1
	v_cmp_gt_f64_e64 s3, |v[36:37]|, s[10:11]
	s_delay_alu instid0(VALU_DEP_1) | instskip(SKIP_2) | instid1(VALU_DEP_1)
	v_cndmask_b32_e64 v7, 0, 1, s3
	s_wait_loadcnt 0x0
	v_cmp_gt_f64_e64 s3, |v[38:39]|, s[10:11]
	v_add_co_ci_u32_e64 v1, null, v1, v7, s3
	s_or_b32 exec_lo, exec_lo, s20
	s_and_saveexec_b32 s20, s1
	s_cbranch_execz .LBB4_6
.LBB4_9:                                ;   in Loop: Header=BB4_3 Depth=1
	global_load_b64 v[32:33], v[24:25], off offset:1024
	global_load_b64 v[34:35], v[20:21], off offset:1024
	;; [unrolled: 1-line block ×4, first 2 shown]
	s_wait_loadcnt 0x3
	s_wait_kmcnt 0x0
	v_cmp_gt_f64_e64 s3, |v[32:33]|, s[10:11]
	s_delay_alu instid0(VALU_DEP_1) | instskip(SKIP_2) | instid1(VALU_DEP_1)
	v_cndmask_b32_e64 v7, 0, 1, s3
	s_wait_loadcnt 0x2
	v_cmp_gt_f64_e64 s3, |v[34:35]|, s[10:11]
	v_add_co_ci_u32_e64 v4, null, v4, v7, s3
	s_wait_loadcnt 0x1
	v_cmp_gt_f64_e64 s3, |v[36:37]|, s[10:11]
	s_delay_alu instid0(VALU_DEP_1) | instskip(SKIP_2) | instid1(VALU_DEP_1)
	v_cndmask_b32_e64 v7, 0, 1, s3
	s_wait_loadcnt 0x0
	v_cmp_gt_f64_e64 s3, |v[38:39]|, s[10:11]
	v_add_co_ci_u32_e64 v4, null, v4, v7, s3
	s_or_b32 exec_lo, exec_lo, s20
	s_and_saveexec_b32 s20, s2
	s_cbranch_execz .LBB4_2
.LBB4_10:                               ;   in Loop: Header=BB4_3 Depth=1
	global_load_b64 v[32:33], v[24:25], off offset:1536
	global_load_b64 v[34:35], v[20:21], off offset:1536
	;; [unrolled: 1-line block ×4, first 2 shown]
	s_wait_loadcnt 0x3
	s_wait_kmcnt 0x0
	v_cmp_gt_f64_e64 s3, |v[32:33]|, s[10:11]
	s_delay_alu instid0(VALU_DEP_1) | instskip(SKIP_2) | instid1(VALU_DEP_1)
	v_cndmask_b32_e64 v7, 0, 1, s3
	s_wait_loadcnt 0x2
	v_cmp_gt_f64_e64 s3, |v[34:35]|, s[10:11]
	v_add_co_ci_u32_e64 v3, null, v3, v7, s3
	s_wait_loadcnt 0x1
	v_cmp_gt_f64_e64 s3, |v[36:37]|, s[10:11]
	s_delay_alu instid0(VALU_DEP_1) | instskip(SKIP_2) | instid1(VALU_DEP_1)
	v_cndmask_b32_e64 v7, 0, 1, s3
	s_wait_loadcnt 0x0
	v_cmp_gt_f64_e64 s3, |v[38:39]|, s[10:11]
	v_add_co_ci_u32_e64 v3, null, v3, v7, s3
	s_branch .LBB4_2
.LBB4_11:
	s_or_b32 exec_lo, exec_lo, s19
.LBB4_12:
	s_delay_alu instid0(SALU_CYCLE_1) | instskip(SKIP_1) | instid1(SALU_CYCLE_1)
	s_or_b32 exec_lo, exec_lo, s18
	s_sub_co_i32 s0, s5, s17
	s_cmp_lt_i32 s0, 1
	s_cbranch_scc1 .LBB4_54
; %bb.13:
	v_ashrrev_i32_e32 v9, 31, v8
	s_mov_b32 s0, exec_lo
	v_cmpx_gt_i32_e64 s4, v8
	s_cbranch_execnz .LBB4_17
; %bb.14:
	s_or_b32 exec_lo, exec_lo, s0
	s_delay_alu instid0(SALU_CYCLE_1)
	s_mov_b32 s0, exec_lo
	v_cmpx_gt_i32_e64 s4, v30
	s_cbranch_execnz .LBB4_26
.LBB4_15:
	s_or_b32 exec_lo, exec_lo, s0
	s_delay_alu instid0(SALU_CYCLE_1)
	s_mov_b32 s0, exec_lo
	v_cmpx_gt_i32_e64 s4, v29
	s_cbranch_execnz .LBB4_35
.LBB4_16:
	s_or_b32 exec_lo, exec_lo, s0
	s_delay_alu instid0(SALU_CYCLE_1)
	s_mov_b32 s0, exec_lo
	v_cmpx_gt_i32_e64 s4, v28
	s_cbranch_execnz .LBB4_44
	s_branch .LBB4_53
.LBB4_17:
	s_delay_alu instid0(VALU_DEP_2)
	v_lshl_add_u64 v[10:11], v[8:9], 3, s[6:7]
	s_mov_b32 s1, exec_lo
	v_cmpx_gt_i32_e64 s5, v6
	s_cbranch_execz .LBB4_19
; %bb.18:
	v_mov_b32_e32 v7, 0
	s_delay_alu instid0(VALU_DEP_1) | instskip(NEXT) | instid1(VALU_DEP_1)
	v_mul_u64_e32 v[12:13], s[8:9], v[6:7]
	v_lshl_add_u64 v[12:13], v[12:13], 3, v[10:11]
	global_load_b64 v[12:13], v[12:13], off
	s_wait_loadcnt 0x0
	s_wait_kmcnt 0x0
	v_cmp_gt_f64_e64 vcc_lo, |v[12:13]|, s[10:11]
	s_delay_alu instid0(VALU_DEP_1)
	v_add_co_ci_u32_e64 v2, null, 0, v2, vcc_lo
.LBB4_19:
	s_or_b32 exec_lo, exec_lo, s1
	v_or_b32_e32 v12, 1, v6
	s_mov_b32 s1, exec_lo
	s_delay_alu instid0(VALU_DEP_1)
	v_cmpx_gt_i32_e64 s5, v12
	s_cbranch_execz .LBB4_21
; %bb.20:
	v_mov_b32_e32 v13, 0
	s_delay_alu instid0(VALU_DEP_1) | instskip(NEXT) | instid1(VALU_DEP_1)
	v_mul_u64_e32 v[12:13], s[8:9], v[12:13]
	v_lshl_add_u64 v[12:13], v[12:13], 3, v[10:11]
	global_load_b64 v[12:13], v[12:13], off
	s_wait_loadcnt 0x0
	s_wait_kmcnt 0x0
	v_cmp_gt_f64_e64 vcc_lo, |v[12:13]|, s[10:11]
	s_delay_alu instid0(VALU_DEP_1)
	v_add_co_ci_u32_e64 v2, null, 0, v2, vcc_lo
.LBB4_21:
	s_or_b32 exec_lo, exec_lo, s1
	v_or_b32_e32 v12, 2, v6
	s_mov_b32 s1, exec_lo
	s_delay_alu instid0(VALU_DEP_1)
	;; [unrolled: 18-line block ×3, first 2 shown]
	v_cmpx_gt_i32_e64 s5, v12
	s_cbranch_execz .LBB4_25
; %bb.24:
	v_mov_b32_e32 v13, 0
	s_delay_alu instid0(VALU_DEP_1) | instskip(NEXT) | instid1(VALU_DEP_1)
	v_mul_u64_e32 v[12:13], s[8:9], v[12:13]
	v_lshl_add_u64 v[10:11], v[12:13], 3, v[10:11]
	global_load_b64 v[10:11], v[10:11], off
	s_wait_loadcnt 0x0
	s_wait_kmcnt 0x0
	v_cmp_gt_f64_e64 vcc_lo, |v[10:11]|, s[10:11]
	s_delay_alu instid0(VALU_DEP_1)
	v_add_co_ci_u32_e64 v2, null, 0, v2, vcc_lo
.LBB4_25:
	s_or_b32 exec_lo, exec_lo, s1
	s_delay_alu instid0(SALU_CYCLE_1) | instskip(NEXT) | instid1(SALU_CYCLE_1)
	s_or_b32 exec_lo, exec_lo, s0
	s_mov_b32 s0, exec_lo
	v_cmpx_gt_i32_e64 s4, v30
	s_cbranch_execz .LBB4_15
.LBB4_26:
	v_lshl_add_u64 v[10:11], v[8:9], 3, s[6:7]
	s_mov_b32 s1, exec_lo
	v_cmpx_gt_i32_e64 s5, v6
	s_cbranch_execz .LBB4_28
; %bb.27:
	v_mov_b32_e32 v7, 0
	s_delay_alu instid0(VALU_DEP_1) | instskip(NEXT) | instid1(VALU_DEP_1)
	v_mul_u64_e32 v[12:13], s[8:9], v[6:7]
	v_lshl_add_u64 v[12:13], v[12:13], 3, v[10:11]
	global_load_b64 v[12:13], v[12:13], off offset:512
	s_wait_loadcnt 0x0
	s_wait_kmcnt 0x0
	v_cmp_gt_f64_e64 vcc_lo, |v[12:13]|, s[10:11]
	s_delay_alu instid0(VALU_DEP_1)
	v_add_co_ci_u32_e64 v1, null, 0, v1, vcc_lo
.LBB4_28:
	s_or_b32 exec_lo, exec_lo, s1
	v_or_b32_e32 v12, 1, v6
	s_mov_b32 s1, exec_lo
	s_delay_alu instid0(VALU_DEP_1)
	v_cmpx_gt_i32_e64 s5, v12
	s_cbranch_execz .LBB4_30
; %bb.29:
	v_mov_b32_e32 v13, 0
	s_delay_alu instid0(VALU_DEP_1) | instskip(NEXT) | instid1(VALU_DEP_1)
	v_mul_u64_e32 v[12:13], s[8:9], v[12:13]
	v_lshl_add_u64 v[12:13], v[12:13], 3, v[10:11]
	global_load_b64 v[12:13], v[12:13], off offset:512
	s_wait_loadcnt 0x0
	s_wait_kmcnt 0x0
	v_cmp_gt_f64_e64 vcc_lo, |v[12:13]|, s[10:11]
	s_delay_alu instid0(VALU_DEP_1)
	v_add_co_ci_u32_e64 v1, null, 0, v1, vcc_lo
.LBB4_30:
	s_or_b32 exec_lo, exec_lo, s1
	v_or_b32_e32 v12, 2, v6
	s_mov_b32 s1, exec_lo
	s_delay_alu instid0(VALU_DEP_1)
	;; [unrolled: 18-line block ×3, first 2 shown]
	v_cmpx_gt_i32_e64 s5, v12
	s_cbranch_execz .LBB4_34
; %bb.33:
	v_mov_b32_e32 v13, 0
	s_delay_alu instid0(VALU_DEP_1) | instskip(NEXT) | instid1(VALU_DEP_1)
	v_mul_u64_e32 v[12:13], s[8:9], v[12:13]
	v_lshl_add_u64 v[10:11], v[12:13], 3, v[10:11]
	global_load_b64 v[10:11], v[10:11], off offset:512
	s_wait_loadcnt 0x0
	s_wait_kmcnt 0x0
	v_cmp_gt_f64_e64 vcc_lo, |v[10:11]|, s[10:11]
	s_delay_alu instid0(VALU_DEP_1)
	v_add_co_ci_u32_e64 v1, null, 0, v1, vcc_lo
.LBB4_34:
	s_or_b32 exec_lo, exec_lo, s1
	s_delay_alu instid0(SALU_CYCLE_1) | instskip(NEXT) | instid1(SALU_CYCLE_1)
	s_or_b32 exec_lo, exec_lo, s0
	s_mov_b32 s0, exec_lo
	v_cmpx_gt_i32_e64 s4, v29
	s_cbranch_execz .LBB4_16
.LBB4_35:
	v_lshl_add_u64 v[10:11], v[8:9], 3, s[6:7]
	s_mov_b32 s1, exec_lo
	v_cmpx_gt_i32_e64 s5, v6
	s_cbranch_execz .LBB4_37
; %bb.36:
	v_mov_b32_e32 v7, 0
	s_delay_alu instid0(VALU_DEP_1) | instskip(NEXT) | instid1(VALU_DEP_1)
	v_mul_u64_e32 v[12:13], s[8:9], v[6:7]
	v_lshl_add_u64 v[12:13], v[12:13], 3, v[10:11]
	global_load_b64 v[12:13], v[12:13], off offset:1024
	s_wait_loadcnt 0x0
	s_wait_kmcnt 0x0
	v_cmp_gt_f64_e64 vcc_lo, |v[12:13]|, s[10:11]
	s_delay_alu instid0(VALU_DEP_1)
	v_add_co_ci_u32_e64 v4, null, 0, v4, vcc_lo
.LBB4_37:
	s_or_b32 exec_lo, exec_lo, s1
	v_or_b32_e32 v12, 1, v6
	s_mov_b32 s1, exec_lo
	s_delay_alu instid0(VALU_DEP_1)
	v_cmpx_gt_i32_e64 s5, v12
	s_cbranch_execz .LBB4_39
; %bb.38:
	v_mov_b32_e32 v13, 0
	s_delay_alu instid0(VALU_DEP_1) | instskip(NEXT) | instid1(VALU_DEP_1)
	v_mul_u64_e32 v[12:13], s[8:9], v[12:13]
	v_lshl_add_u64 v[12:13], v[12:13], 3, v[10:11]
	global_load_b64 v[12:13], v[12:13], off offset:1024
	s_wait_loadcnt 0x0
	s_wait_kmcnt 0x0
	v_cmp_gt_f64_e64 vcc_lo, |v[12:13]|, s[10:11]
	s_delay_alu instid0(VALU_DEP_1)
	v_add_co_ci_u32_e64 v4, null, 0, v4, vcc_lo
.LBB4_39:
	s_or_b32 exec_lo, exec_lo, s1
	v_or_b32_e32 v12, 2, v6
	s_mov_b32 s1, exec_lo
	s_delay_alu instid0(VALU_DEP_1)
	;; [unrolled: 18-line block ×3, first 2 shown]
	v_cmpx_gt_i32_e64 s5, v12
	s_cbranch_execz .LBB4_43
; %bb.42:
	v_mov_b32_e32 v13, 0
	s_delay_alu instid0(VALU_DEP_1) | instskip(NEXT) | instid1(VALU_DEP_1)
	v_mul_u64_e32 v[12:13], s[8:9], v[12:13]
	v_lshl_add_u64 v[10:11], v[12:13], 3, v[10:11]
	global_load_b64 v[10:11], v[10:11], off offset:1024
	s_wait_loadcnt 0x0
	s_wait_kmcnt 0x0
	v_cmp_gt_f64_e64 vcc_lo, |v[10:11]|, s[10:11]
	s_delay_alu instid0(VALU_DEP_1)
	v_add_co_ci_u32_e64 v4, null, 0, v4, vcc_lo
.LBB4_43:
	s_or_b32 exec_lo, exec_lo, s1
	s_delay_alu instid0(SALU_CYCLE_1) | instskip(NEXT) | instid1(SALU_CYCLE_1)
	s_or_b32 exec_lo, exec_lo, s0
	s_mov_b32 s0, exec_lo
	v_cmpx_gt_i32_e64 s4, v28
	s_cbranch_execz .LBB4_53
.LBB4_44:
	v_lshl_add_u64 v[8:9], v[8:9], 3, s[6:7]
	s_mov_b32 s1, exec_lo
	v_cmpx_gt_i32_e64 s5, v6
	s_cbranch_execz .LBB4_46
; %bb.45:
	v_mov_b32_e32 v7, 0
	s_delay_alu instid0(VALU_DEP_1) | instskip(NEXT) | instid1(VALU_DEP_1)
	v_mul_u64_e32 v[10:11], s[8:9], v[6:7]
	v_lshl_add_u64 v[10:11], v[10:11], 3, v[8:9]
	global_load_b64 v[10:11], v[10:11], off offset:1536
	s_wait_loadcnt 0x0
	s_wait_kmcnt 0x0
	v_cmp_gt_f64_e64 vcc_lo, |v[10:11]|, s[10:11]
	s_delay_alu instid0(VALU_DEP_1)
	v_add_co_ci_u32_e64 v3, null, 0, v3, vcc_lo
.LBB4_46:
	s_or_b32 exec_lo, exec_lo, s1
	v_or_b32_e32 v10, 1, v6
	s_mov_b32 s1, exec_lo
	s_delay_alu instid0(VALU_DEP_1)
	v_cmpx_gt_i32_e64 s5, v10
	s_cbranch_execz .LBB4_48
; %bb.47:
	v_mov_b32_e32 v11, 0
	s_delay_alu instid0(VALU_DEP_1) | instskip(NEXT) | instid1(VALU_DEP_1)
	v_mul_u64_e32 v[10:11], s[8:9], v[10:11]
	v_lshl_add_u64 v[10:11], v[10:11], 3, v[8:9]
	global_load_b64 v[10:11], v[10:11], off offset:1536
	s_wait_loadcnt 0x0
	s_wait_kmcnt 0x0
	v_cmp_gt_f64_e64 vcc_lo, |v[10:11]|, s[10:11]
	s_delay_alu instid0(VALU_DEP_1)
	v_add_co_ci_u32_e64 v3, null, 0, v3, vcc_lo
.LBB4_48:
	s_or_b32 exec_lo, exec_lo, s1
	v_or_b32_e32 v10, 2, v6
	s_mov_b32 s1, exec_lo
	s_delay_alu instid0(VALU_DEP_1)
	;; [unrolled: 18-line block ×3, first 2 shown]
	v_cmpx_gt_i32_e64 s5, v6
	s_cbranch_execz .LBB4_52
; %bb.51:
	v_mov_b32_e32 v7, 0
	s_delay_alu instid0(VALU_DEP_1) | instskip(NEXT) | instid1(VALU_DEP_1)
	v_mul_u64_e32 v[6:7], s[8:9], v[6:7]
	v_lshl_add_u64 v[6:7], v[6:7], 3, v[8:9]
	global_load_b64 v[6:7], v[6:7], off offset:1536
	s_wait_loadcnt 0x0
	s_wait_kmcnt 0x0
	v_cmp_gt_f64_e64 vcc_lo, |v[6:7]|, s[10:11]
	s_delay_alu instid0(VALU_DEP_1)
	v_add_co_ci_u32_e64 v3, null, 0, v3, vcc_lo
.LBB4_52:
	s_or_b32 exec_lo, exec_lo, s1
.LBB4_53:
	s_delay_alu instid0(SALU_CYCLE_1)
	s_or_b32 exec_lo, exec_lo, s0
.LBB4_54:
	v_dual_lshlrev_b32 v6, 4, v0 :: v_dual_lshlrev_b32 v5, 2, v5
	s_mov_b32 s0, exec_lo
	s_delay_alu instid0(VALU_DEP_1)
	v_and_or_b32 v5, 0x7ffffc00, v6, v5
	ds_store_2addr_stride64_b32 v5, v2, v1 offset1:1
	ds_store_2addr_stride64_b32 v5, v4, v3 offset0:2 offset1:3
	s_wait_dscnt 0x0
	s_barrier_signal -1
	s_barrier_wait -1
	v_cmpx_gt_u32_e32 0x100, v0
	s_cbranch_execz .LBB4_57
; %bb.55:
	v_dual_lshlrev_b32 v10, 2, v0 :: v_dual_bitop2_b32 v0, s16, v0 bitop3:0x54
	ds_load_2addr_stride64_b32 v[2:3], v10 offset1:4
	ds_load_2addr_stride64_b32 v[4:5], v10 offset0:8 offset1:12
	ds_load_2addr_stride64_b32 v[6:7], v10 offset0:16 offset1:20
	;; [unrolled: 1-line block ×3, first 2 shown]
	v_cmp_gt_i32_e32 vcc_lo, s4, v0
	s_wait_dscnt 0x3
	v_add_nc_u32_e32 v1, v3, v2
	ds_load_2addr_stride64_b32 v[2:3], v10 offset0:32 offset1:36
	s_wait_dscnt 0x3
	v_add3_u32 v1, v1, v4, v5
	ds_load_2addr_stride64_b32 v[4:5], v10 offset0:40 offset1:44
	s_wait_dscnt 0x3
	v_add3_u32 v1, v1, v6, v7
	;; [unrolled: 3-line block ×4, first 2 shown]
	s_wait_dscnt 0x2
	s_delay_alu instid0(VALU_DEP_1) | instskip(SKIP_1) | instid1(VALU_DEP_1)
	v_add3_u32 v1, v1, v4, v5
	s_wait_dscnt 0x1
	v_add3_u32 v1, v1, v6, v7
	s_wait_dscnt 0x0
	s_delay_alu instid0(VALU_DEP_1)
	v_add3_u32 v1, v1, v8, v9
	ds_store_b32 v10, v1
	s_and_b32 exec_lo, exec_lo, vcc_lo
	s_cbranch_execz .LBB4_57
; %bb.56:
	global_store_b32 v0, v1, s[12:13] scale_offset
.LBB4_57:
	s_endpgm
	.section	.rodata,"a",@progbits
	.p2align	6, 0x0
	.amdhsa_kernel _ZN9rocsparseL27prune_dense2csr_nnz_kernel2ILi64ELi16EdEEviiPKT1_lS3_Pi
		.amdhsa_group_segment_fixed_size 16384
		.amdhsa_private_segment_fixed_size 0
		.amdhsa_kernarg_size 296
		.amdhsa_user_sgpr_count 2
		.amdhsa_user_sgpr_dispatch_ptr 0
		.amdhsa_user_sgpr_queue_ptr 0
		.amdhsa_user_sgpr_kernarg_segment_ptr 1
		.amdhsa_user_sgpr_dispatch_id 0
		.amdhsa_user_sgpr_kernarg_preload_length 0
		.amdhsa_user_sgpr_kernarg_preload_offset 0
		.amdhsa_user_sgpr_private_segment_size 0
		.amdhsa_wavefront_size32 1
		.amdhsa_uses_dynamic_stack 0
		.amdhsa_enable_private_segment 0
		.amdhsa_system_sgpr_workgroup_id_x 1
		.amdhsa_system_sgpr_workgroup_id_y 0
		.amdhsa_system_sgpr_workgroup_id_z 0
		.amdhsa_system_sgpr_workgroup_info 0
		.amdhsa_system_vgpr_workitem_id 1
		.amdhsa_next_free_vgpr 40
		.amdhsa_next_free_sgpr 21
		.amdhsa_named_barrier_count 0
		.amdhsa_reserve_vcc 1
		.amdhsa_float_round_mode_32 0
		.amdhsa_float_round_mode_16_64 0
		.amdhsa_float_denorm_mode_32 3
		.amdhsa_float_denorm_mode_16_64 3
		.amdhsa_fp16_overflow 0
		.amdhsa_memory_ordered 1
		.amdhsa_forward_progress 1
		.amdhsa_inst_pref_size 24
		.amdhsa_round_robin_scheduling 0
		.amdhsa_exception_fp_ieee_invalid_op 0
		.amdhsa_exception_fp_denorm_src 0
		.amdhsa_exception_fp_ieee_div_zero 0
		.amdhsa_exception_fp_ieee_overflow 0
		.amdhsa_exception_fp_ieee_underflow 0
		.amdhsa_exception_fp_ieee_inexact 0
		.amdhsa_exception_int_div_zero 0
	.end_amdhsa_kernel
	.section	.text._ZN9rocsparseL27prune_dense2csr_nnz_kernel2ILi64ELi16EdEEviiPKT1_lS3_Pi,"axG",@progbits,_ZN9rocsparseL27prune_dense2csr_nnz_kernel2ILi64ELi16EdEEviiPKT1_lS3_Pi,comdat
.Lfunc_end4:
	.size	_ZN9rocsparseL27prune_dense2csr_nnz_kernel2ILi64ELi16EdEEviiPKT1_lS3_Pi, .Lfunc_end4-_ZN9rocsparseL27prune_dense2csr_nnz_kernel2ILi64ELi16EdEEviiPKT1_lS3_Pi
                                        ; -- End function
	.set _ZN9rocsparseL27prune_dense2csr_nnz_kernel2ILi64ELi16EdEEviiPKT1_lS3_Pi.num_vgpr, 40
	.set _ZN9rocsparseL27prune_dense2csr_nnz_kernel2ILi64ELi16EdEEviiPKT1_lS3_Pi.num_agpr, 0
	.set _ZN9rocsparseL27prune_dense2csr_nnz_kernel2ILi64ELi16EdEEviiPKT1_lS3_Pi.numbered_sgpr, 21
	.set _ZN9rocsparseL27prune_dense2csr_nnz_kernel2ILi64ELi16EdEEviiPKT1_lS3_Pi.num_named_barrier, 0
	.set _ZN9rocsparseL27prune_dense2csr_nnz_kernel2ILi64ELi16EdEEviiPKT1_lS3_Pi.private_seg_size, 0
	.set _ZN9rocsparseL27prune_dense2csr_nnz_kernel2ILi64ELi16EdEEviiPKT1_lS3_Pi.uses_vcc, 1
	.set _ZN9rocsparseL27prune_dense2csr_nnz_kernel2ILi64ELi16EdEEviiPKT1_lS3_Pi.uses_flat_scratch, 0
	.set _ZN9rocsparseL27prune_dense2csr_nnz_kernel2ILi64ELi16EdEEviiPKT1_lS3_Pi.has_dyn_sized_stack, 0
	.set _ZN9rocsparseL27prune_dense2csr_nnz_kernel2ILi64ELi16EdEEviiPKT1_lS3_Pi.has_recursion, 0
	.set _ZN9rocsparseL27prune_dense2csr_nnz_kernel2ILi64ELi16EdEEviiPKT1_lS3_Pi.has_indirect_call, 0
	.section	.AMDGPU.csdata,"",@progbits
; Kernel info:
; codeLenInByte = 3004
; TotalNumSgprs: 23
; NumVgprs: 40
; ScratchSize: 0
; MemoryBound: 0
; FloatMode: 240
; IeeeMode: 1
; LDSByteSize: 16384 bytes/workgroup (compile time only)
; SGPRBlocks: 0
; VGPRBlocks: 2
; NumSGPRsForWavesPerEU: 23
; NumVGPRsForWavesPerEU: 40
; NamedBarCnt: 0
; Occupancy: 16
; WaveLimiterHint : 0
; COMPUTE_PGM_RSRC2:SCRATCH_EN: 0
; COMPUTE_PGM_RSRC2:USER_SGPR: 2
; COMPUTE_PGM_RSRC2:TRAP_HANDLER: 0
; COMPUTE_PGM_RSRC2:TGID_X_EN: 1
; COMPUTE_PGM_RSRC2:TGID_Y_EN: 0
; COMPUTE_PGM_RSRC2:TGID_Z_EN: 0
; COMPUTE_PGM_RSRC2:TIDIG_COMP_CNT: 1
	.section	.text._ZN9rocsparseL38prune_dense2csr_kernel2_device_pointerILi16ELi32EfEEv21rocsparse_index_base_iiPKT1_lS4_PS2_PKiPi,"axG",@progbits,_ZN9rocsparseL38prune_dense2csr_kernel2_device_pointerILi16ELi32EfEEv21rocsparse_index_base_iiPKT1_lS4_PS2_PKiPi,comdat
	.globl	_ZN9rocsparseL38prune_dense2csr_kernel2_device_pointerILi16ELi32EfEEv21rocsparse_index_base_iiPKT1_lS4_PS2_PKiPi ; -- Begin function _ZN9rocsparseL38prune_dense2csr_kernel2_device_pointerILi16ELi32EfEEv21rocsparse_index_base_iiPKT1_lS4_PS2_PKiPi
	.p2align	8
	.type	_ZN9rocsparseL38prune_dense2csr_kernel2_device_pointerILi16ELi32EfEEv21rocsparse_index_base_iiPKT1_lS4_PS2_PKiPi,@function
_ZN9rocsparseL38prune_dense2csr_kernel2_device_pointerILi16ELi32EfEEv21rocsparse_index_base_iiPKT1_lS4_PS2_PKiPi: ; @_ZN9rocsparseL38prune_dense2csr_kernel2_device_pointerILi16ELi32EfEEv21rocsparse_index_base_iiPKT1_lS4_PS2_PKiPi
; %bb.0:
	s_load_b96 s[12:14], s[0:1], 0x0
	s_bfe_u32 s2, ttmp6, 0x4000c
	s_and_b32 s3, ttmp6, 15
	s_add_co_i32 s2, s2, 1
	s_getreg_b32 s4, hwreg(HW_REG_IB_STS2, 6, 4)
	s_mul_i32 s2, ttmp9, s2
	v_lshrrev_b32_e32 v1, 5, v0
	s_add_co_i32 s3, s3, s2
	s_cmp_eq_u32 s4, 0
	s_cselect_b32 s2, ttmp9, s3
	s_delay_alu instid0(VALU_DEP_1) | instid1(SALU_CYCLE_1)
	v_lshl_or_b32 v4, s2, 4, v1
	s_mov_b32 s2, exec_lo
	s_wait_kmcnt 0x0
	s_delay_alu instid0(VALU_DEP_1)
	v_cmpx_gt_i32_e64 s13, v4
	s_cbranch_execz .LBB5_6
; %bb.1:
	v_and_b32_e32 v0, 31, v0
	s_delay_alu instid0(VALU_DEP_1)
	v_cmp_gt_i32_e32 vcc_lo, s14, v0
	s_and_b32 exec_lo, exec_lo, vcc_lo
	s_cbranch_execz .LBB5_6
; %bb.2:
	s_load_b256 s[4:11], s[0:1], 0x18
	v_dual_mov_b32 v3, 0 :: v_dual_ashrrev_i32 v5, 31, v4
	s_load_b64 s[16:17], s[0:1], 0x10
	s_delay_alu instid0(VALU_DEP_1)
	v_mov_b32_e32 v1, v3
	s_wait_kmcnt 0x0
	global_load_b32 v2, v4, s[10:11] scale_offset
	v_mul_u64_e32 v[6:7], s[4:5], v[0:1]
	s_load_b64 s[2:3], s[0:1], 0x38
	s_load_b32 s10, s[6:7], 0x0
	v_lshlrev_b64_e32 v[4:5], 2, v[4:5]
	v_xor_b32_e32 v1, 31, v0
	s_wait_xcnt 0x0
	s_mov_b32 s6, 0
	s_lshl_b64 s[0:1], s[4:5], 7
	s_delay_alu instid0(VALU_DEP_2) | instskip(SKIP_2) | instid1(VALU_DEP_3)
	v_lshl_add_u64 v[6:7], v[6:7], 2, v[4:5]
	v_lshrrev_b32_e64 v4, v1, -1
	v_mov_b32_e32 v1, 0x7c
	v_add_nc_u64_e32 v[6:7], s[16:17], v[6:7]
	s_wait_loadcnt 0x0
	v_subrev_nc_u32_e32 v8, s12, v2
	s_branch .LBB5_4
.LBB5_3:                                ;   in Loop: Header=BB5_4 Depth=1
	s_wait_xcnt 0x0
	s_or_b32 exec_lo, exec_lo, s4
	ds_bpermute_b32 v2, v1, v2
	v_add_nc_u32_e32 v0, 32, v0
	v_add_nc_u64_e32 v[6:7], s[0:1], v[6:7]
	s_delay_alu instid0(VALU_DEP_2)
	v_cmp_le_i32_e32 vcc_lo, s14, v0
	s_or_b32 s6, vcc_lo, s6
	s_wait_dscnt 0x0
	v_add_nc_u32_e32 v8, v2, v8
	s_and_not1_b32 exec_lo, exec_lo, s6
	s_cbranch_execz .LBB5_6
.LBB5_4:                                ; =>This Inner Loop Header: Depth=1
	s_barrier_signal -1
	s_barrier_wait -1
	global_load_b32 v5, v[6:7], off
	s_wait_loadcnt 0x0
	s_wait_kmcnt 0x0
	v_cmp_gt_f32_e64 s5, |v5|, s10
	s_delay_alu instid0(VALU_DEP_1) | instskip(NEXT) | instid1(VALU_DEP_1)
	v_and_b32_e32 v2, s5, v4
	v_bcnt_u32_b32 v2, v2, 0
	s_wait_xcnt 0x0
	s_and_saveexec_b32 s4, s5
	s_cbranch_execz .LBB5_3
; %bb.5:                                ;   in Loop: Header=BB5_4 Depth=1
	v_ashrrev_i32_e32 v9, 31, v8
	s_delay_alu instid0(VALU_DEP_1) | instskip(SKIP_1) | instid1(VALU_DEP_2)
	v_add_nc_u64_e32 v[10:11], v[8:9], v[2:3]
	v_add_nc_u32_e32 v9, s12, v0
	v_lshlrev_b64_e32 v[10:11], 2, v[10:11]
	s_delay_alu instid0(VALU_DEP_1)
	v_add_nc_u64_e32 v[12:13], s[8:9], v[10:11]
	v_add_nc_u64_e32 v[10:11], s[2:3], v[10:11]
	global_store_b32 v[12:13], v5, off offset:-4
	global_store_b32 v[10:11], v9, off offset:-4
	s_branch .LBB5_3
.LBB5_6:
	s_endpgm
	.section	.rodata,"a",@progbits
	.p2align	6, 0x0
	.amdhsa_kernel _ZN9rocsparseL38prune_dense2csr_kernel2_device_pointerILi16ELi32EfEEv21rocsparse_index_base_iiPKT1_lS4_PS2_PKiPi
		.amdhsa_group_segment_fixed_size 0
		.amdhsa_private_segment_fixed_size 0
		.amdhsa_kernarg_size 64
		.amdhsa_user_sgpr_count 2
		.amdhsa_user_sgpr_dispatch_ptr 0
		.amdhsa_user_sgpr_queue_ptr 0
		.amdhsa_user_sgpr_kernarg_segment_ptr 1
		.amdhsa_user_sgpr_dispatch_id 0
		.amdhsa_user_sgpr_kernarg_preload_length 0
		.amdhsa_user_sgpr_kernarg_preload_offset 0
		.amdhsa_user_sgpr_private_segment_size 0
		.amdhsa_wavefront_size32 1
		.amdhsa_uses_dynamic_stack 0
		.amdhsa_enable_private_segment 0
		.amdhsa_system_sgpr_workgroup_id_x 1
		.amdhsa_system_sgpr_workgroup_id_y 0
		.amdhsa_system_sgpr_workgroup_id_z 0
		.amdhsa_system_sgpr_workgroup_info 0
		.amdhsa_system_vgpr_workitem_id 0
		.amdhsa_next_free_vgpr 14
		.amdhsa_next_free_sgpr 18
		.amdhsa_named_barrier_count 0
		.amdhsa_reserve_vcc 1
		.amdhsa_float_round_mode_32 0
		.amdhsa_float_round_mode_16_64 0
		.amdhsa_float_denorm_mode_32 3
		.amdhsa_float_denorm_mode_16_64 3
		.amdhsa_fp16_overflow 0
		.amdhsa_memory_ordered 1
		.amdhsa_forward_progress 1
		.amdhsa_inst_pref_size 4
		.amdhsa_round_robin_scheduling 0
		.amdhsa_exception_fp_ieee_invalid_op 0
		.amdhsa_exception_fp_denorm_src 0
		.amdhsa_exception_fp_ieee_div_zero 0
		.amdhsa_exception_fp_ieee_overflow 0
		.amdhsa_exception_fp_ieee_underflow 0
		.amdhsa_exception_fp_ieee_inexact 0
		.amdhsa_exception_int_div_zero 0
	.end_amdhsa_kernel
	.section	.text._ZN9rocsparseL38prune_dense2csr_kernel2_device_pointerILi16ELi32EfEEv21rocsparse_index_base_iiPKT1_lS4_PS2_PKiPi,"axG",@progbits,_ZN9rocsparseL38prune_dense2csr_kernel2_device_pointerILi16ELi32EfEEv21rocsparse_index_base_iiPKT1_lS4_PS2_PKiPi,comdat
.Lfunc_end5:
	.size	_ZN9rocsparseL38prune_dense2csr_kernel2_device_pointerILi16ELi32EfEEv21rocsparse_index_base_iiPKT1_lS4_PS2_PKiPi, .Lfunc_end5-_ZN9rocsparseL38prune_dense2csr_kernel2_device_pointerILi16ELi32EfEEv21rocsparse_index_base_iiPKT1_lS4_PS2_PKiPi
                                        ; -- End function
	.set _ZN9rocsparseL38prune_dense2csr_kernel2_device_pointerILi16ELi32EfEEv21rocsparse_index_base_iiPKT1_lS4_PS2_PKiPi.num_vgpr, 14
	.set _ZN9rocsparseL38prune_dense2csr_kernel2_device_pointerILi16ELi32EfEEv21rocsparse_index_base_iiPKT1_lS4_PS2_PKiPi.num_agpr, 0
	.set _ZN9rocsparseL38prune_dense2csr_kernel2_device_pointerILi16ELi32EfEEv21rocsparse_index_base_iiPKT1_lS4_PS2_PKiPi.numbered_sgpr, 18
	.set _ZN9rocsparseL38prune_dense2csr_kernel2_device_pointerILi16ELi32EfEEv21rocsparse_index_base_iiPKT1_lS4_PS2_PKiPi.num_named_barrier, 0
	.set _ZN9rocsparseL38prune_dense2csr_kernel2_device_pointerILi16ELi32EfEEv21rocsparse_index_base_iiPKT1_lS4_PS2_PKiPi.private_seg_size, 0
	.set _ZN9rocsparseL38prune_dense2csr_kernel2_device_pointerILi16ELi32EfEEv21rocsparse_index_base_iiPKT1_lS4_PS2_PKiPi.uses_vcc, 1
	.set _ZN9rocsparseL38prune_dense2csr_kernel2_device_pointerILi16ELi32EfEEv21rocsparse_index_base_iiPKT1_lS4_PS2_PKiPi.uses_flat_scratch, 0
	.set _ZN9rocsparseL38prune_dense2csr_kernel2_device_pointerILi16ELi32EfEEv21rocsparse_index_base_iiPKT1_lS4_PS2_PKiPi.has_dyn_sized_stack, 0
	.set _ZN9rocsparseL38prune_dense2csr_kernel2_device_pointerILi16ELi32EfEEv21rocsparse_index_base_iiPKT1_lS4_PS2_PKiPi.has_recursion, 0
	.set _ZN9rocsparseL38prune_dense2csr_kernel2_device_pointerILi16ELi32EfEEv21rocsparse_index_base_iiPKT1_lS4_PS2_PKiPi.has_indirect_call, 0
	.section	.AMDGPU.csdata,"",@progbits
; Kernel info:
; codeLenInByte = 420
; TotalNumSgprs: 20
; NumVgprs: 14
; ScratchSize: 0
; MemoryBound: 0
; FloatMode: 240
; IeeeMode: 1
; LDSByteSize: 0 bytes/workgroup (compile time only)
; SGPRBlocks: 0
; VGPRBlocks: 0
; NumSGPRsForWavesPerEU: 20
; NumVGPRsForWavesPerEU: 14
; NamedBarCnt: 0
; Occupancy: 16
; WaveLimiterHint : 0
; COMPUTE_PGM_RSRC2:SCRATCH_EN: 0
; COMPUTE_PGM_RSRC2:USER_SGPR: 2
; COMPUTE_PGM_RSRC2:TRAP_HANDLER: 0
; COMPUTE_PGM_RSRC2:TGID_X_EN: 1
; COMPUTE_PGM_RSRC2:TGID_Y_EN: 0
; COMPUTE_PGM_RSRC2:TGID_Z_EN: 0
; COMPUTE_PGM_RSRC2:TIDIG_COMP_CNT: 0
	.section	.text._ZN9rocsparseL38prune_dense2csr_kernel2_device_pointerILi16ELi64EfEEv21rocsparse_index_base_iiPKT1_lS4_PS2_PKiPi,"axG",@progbits,_ZN9rocsparseL38prune_dense2csr_kernel2_device_pointerILi16ELi64EfEEv21rocsparse_index_base_iiPKT1_lS4_PS2_PKiPi,comdat
	.globl	_ZN9rocsparseL38prune_dense2csr_kernel2_device_pointerILi16ELi64EfEEv21rocsparse_index_base_iiPKT1_lS4_PS2_PKiPi ; -- Begin function _ZN9rocsparseL38prune_dense2csr_kernel2_device_pointerILi16ELi64EfEEv21rocsparse_index_base_iiPKT1_lS4_PS2_PKiPi
	.p2align	8
	.type	_ZN9rocsparseL38prune_dense2csr_kernel2_device_pointerILi16ELi64EfEEv21rocsparse_index_base_iiPKT1_lS4_PS2_PKiPi,@function
_ZN9rocsparseL38prune_dense2csr_kernel2_device_pointerILi16ELi64EfEEv21rocsparse_index_base_iiPKT1_lS4_PS2_PKiPi: ; @_ZN9rocsparseL38prune_dense2csr_kernel2_device_pointerILi16ELi64EfEEv21rocsparse_index_base_iiPKT1_lS4_PS2_PKiPi
; %bb.0:
	s_load_b96 s[12:14], s[0:1], 0x0
	s_bfe_u32 s2, ttmp6, 0x4000c
	s_and_b32 s3, ttmp6, 15
	s_add_co_i32 s2, s2, 1
	s_getreg_b32 s4, hwreg(HW_REG_IB_STS2, 6, 4)
	s_mul_i32 s2, ttmp9, s2
	v_lshrrev_b32_e32 v1, 6, v0
	s_add_co_i32 s3, s3, s2
	s_cmp_eq_u32 s4, 0
	s_cselect_b32 s2, ttmp9, s3
	s_delay_alu instid0(VALU_DEP_1) | instid1(SALU_CYCLE_1)
	v_lshl_or_b32 v4, s2, 4, v1
	s_mov_b32 s2, exec_lo
	s_wait_kmcnt 0x0
	s_delay_alu instid0(VALU_DEP_1)
	v_cmpx_gt_i32_e64 s13, v4
	s_cbranch_execz .LBB6_6
; %bb.1:
	v_and_b32_e32 v0, 63, v0
	s_delay_alu instid0(VALU_DEP_1)
	v_cmp_gt_i32_e32 vcc_lo, s14, v0
	s_and_b32 exec_lo, exec_lo, vcc_lo
	s_cbranch_execz .LBB6_6
; %bb.2:
	s_load_b256 s[4:11], s[0:1], 0x18
	v_dual_mov_b32 v3, 0 :: v_dual_ashrrev_i32 v5, 31, v4
	s_load_b64 s[16:17], s[0:1], 0x10
	s_delay_alu instid0(VALU_DEP_1)
	v_mov_b32_e32 v1, v3
	s_wait_kmcnt 0x0
	global_load_b32 v2, v4, s[10:11] scale_offset
	v_mul_u64_e32 v[6:7], s[4:5], v[0:1]
	s_load_b64 s[2:3], s[0:1], 0x38
	s_load_b32 s10, s[6:7], 0x0
	v_lshlrev_b64_e32 v[4:5], 2, v[4:5]
	v_xor_b32_e32 v1, 63, v0
	s_wait_xcnt 0x0
	s_lshl_b64 s[0:1], s[4:5], 8
	s_mov_b32 s4, 0
	s_delay_alu instid0(VALU_DEP_2) | instskip(SKIP_2) | instid1(VALU_DEP_3)
	v_lshl_add_u64 v[6:7], v[6:7], 2, v[4:5]
	v_lshrrev_b64 v[4:5], v1, -1
	v_mov_b32_e32 v1, 0x7c
	v_add_nc_u64_e32 v[6:7], s[16:17], v[6:7]
	s_wait_loadcnt 0x0
	v_subrev_nc_u32_e32 v8, s12, v2
	s_branch .LBB6_4
.LBB6_3:                                ;   in Loop: Header=BB6_4 Depth=1
	s_wait_xcnt 0x0
	s_or_b32 exec_lo, exec_lo, s5
	ds_bpermute_b32 v2, v1, v2
	v_add_nc_u32_e32 v0, 64, v0
	v_add_nc_u64_e32 v[6:7], s[0:1], v[6:7]
	s_delay_alu instid0(VALU_DEP_2)
	v_cmp_le_i32_e32 vcc_lo, s14, v0
	s_or_b32 s4, vcc_lo, s4
	s_wait_dscnt 0x0
	v_add_nc_u32_e32 v8, v2, v8
	s_and_not1_b32 exec_lo, exec_lo, s4
	s_cbranch_execz .LBB6_6
.LBB6_4:                                ; =>This Inner Loop Header: Depth=1
	s_barrier_signal -1
	s_barrier_wait -1
	global_load_b32 v5, v[6:7], off
	s_wait_loadcnt 0x0
	s_wait_kmcnt 0x0
	v_cmp_gt_f32_e64 s6, |v5|, s10
	s_delay_alu instid0(VALU_DEP_1) | instskip(NEXT) | instid1(VALU_DEP_1)
	v_and_b32_e32 v2, s6, v4
	v_bcnt_u32_b32 v2, v2, 0
	s_wait_xcnt 0x0
	s_and_saveexec_b32 s5, s6
	s_cbranch_execz .LBB6_3
; %bb.5:                                ;   in Loop: Header=BB6_4 Depth=1
	v_ashrrev_i32_e32 v9, 31, v8
	s_delay_alu instid0(VALU_DEP_1) | instskip(SKIP_1) | instid1(VALU_DEP_2)
	v_add_nc_u64_e32 v[10:11], v[8:9], v[2:3]
	v_add_nc_u32_e32 v9, s12, v0
	v_lshlrev_b64_e32 v[10:11], 2, v[10:11]
	s_delay_alu instid0(VALU_DEP_1)
	v_add_nc_u64_e32 v[12:13], s[8:9], v[10:11]
	v_add_nc_u64_e32 v[10:11], s[2:3], v[10:11]
	global_store_b32 v[12:13], v5, off offset:-4
	global_store_b32 v[10:11], v9, off offset:-4
	s_branch .LBB6_3
.LBB6_6:
	s_endpgm
	.section	.rodata,"a",@progbits
	.p2align	6, 0x0
	.amdhsa_kernel _ZN9rocsparseL38prune_dense2csr_kernel2_device_pointerILi16ELi64EfEEv21rocsparse_index_base_iiPKT1_lS4_PS2_PKiPi
		.amdhsa_group_segment_fixed_size 0
		.amdhsa_private_segment_fixed_size 0
		.amdhsa_kernarg_size 64
		.amdhsa_user_sgpr_count 2
		.amdhsa_user_sgpr_dispatch_ptr 0
		.amdhsa_user_sgpr_queue_ptr 0
		.amdhsa_user_sgpr_kernarg_segment_ptr 1
		.amdhsa_user_sgpr_dispatch_id 0
		.amdhsa_user_sgpr_kernarg_preload_length 0
		.amdhsa_user_sgpr_kernarg_preload_offset 0
		.amdhsa_user_sgpr_private_segment_size 0
		.amdhsa_wavefront_size32 1
		.amdhsa_uses_dynamic_stack 0
		.amdhsa_enable_private_segment 0
		.amdhsa_system_sgpr_workgroup_id_x 1
		.amdhsa_system_sgpr_workgroup_id_y 0
		.amdhsa_system_sgpr_workgroup_id_z 0
		.amdhsa_system_sgpr_workgroup_info 0
		.amdhsa_system_vgpr_workitem_id 0
		.amdhsa_next_free_vgpr 14
		.amdhsa_next_free_sgpr 18
		.amdhsa_named_barrier_count 0
		.amdhsa_reserve_vcc 1
		.amdhsa_float_round_mode_32 0
		.amdhsa_float_round_mode_16_64 0
		.amdhsa_float_denorm_mode_32 3
		.amdhsa_float_denorm_mode_16_64 3
		.amdhsa_fp16_overflow 0
		.amdhsa_memory_ordered 1
		.amdhsa_forward_progress 1
		.amdhsa_inst_pref_size 4
		.amdhsa_round_robin_scheduling 0
		.amdhsa_exception_fp_ieee_invalid_op 0
		.amdhsa_exception_fp_denorm_src 0
		.amdhsa_exception_fp_ieee_div_zero 0
		.amdhsa_exception_fp_ieee_overflow 0
		.amdhsa_exception_fp_ieee_underflow 0
		.amdhsa_exception_fp_ieee_inexact 0
		.amdhsa_exception_int_div_zero 0
	.end_amdhsa_kernel
	.section	.text._ZN9rocsparseL38prune_dense2csr_kernel2_device_pointerILi16ELi64EfEEv21rocsparse_index_base_iiPKT1_lS4_PS2_PKiPi,"axG",@progbits,_ZN9rocsparseL38prune_dense2csr_kernel2_device_pointerILi16ELi64EfEEv21rocsparse_index_base_iiPKT1_lS4_PS2_PKiPi,comdat
.Lfunc_end6:
	.size	_ZN9rocsparseL38prune_dense2csr_kernel2_device_pointerILi16ELi64EfEEv21rocsparse_index_base_iiPKT1_lS4_PS2_PKiPi, .Lfunc_end6-_ZN9rocsparseL38prune_dense2csr_kernel2_device_pointerILi16ELi64EfEEv21rocsparse_index_base_iiPKT1_lS4_PS2_PKiPi
                                        ; -- End function
	.set _ZN9rocsparseL38prune_dense2csr_kernel2_device_pointerILi16ELi64EfEEv21rocsparse_index_base_iiPKT1_lS4_PS2_PKiPi.num_vgpr, 14
	.set _ZN9rocsparseL38prune_dense2csr_kernel2_device_pointerILi16ELi64EfEEv21rocsparse_index_base_iiPKT1_lS4_PS2_PKiPi.num_agpr, 0
	.set _ZN9rocsparseL38prune_dense2csr_kernel2_device_pointerILi16ELi64EfEEv21rocsparse_index_base_iiPKT1_lS4_PS2_PKiPi.numbered_sgpr, 18
	.set _ZN9rocsparseL38prune_dense2csr_kernel2_device_pointerILi16ELi64EfEEv21rocsparse_index_base_iiPKT1_lS4_PS2_PKiPi.num_named_barrier, 0
	.set _ZN9rocsparseL38prune_dense2csr_kernel2_device_pointerILi16ELi64EfEEv21rocsparse_index_base_iiPKT1_lS4_PS2_PKiPi.private_seg_size, 0
	.set _ZN9rocsparseL38prune_dense2csr_kernel2_device_pointerILi16ELi64EfEEv21rocsparse_index_base_iiPKT1_lS4_PS2_PKiPi.uses_vcc, 1
	.set _ZN9rocsparseL38prune_dense2csr_kernel2_device_pointerILi16ELi64EfEEv21rocsparse_index_base_iiPKT1_lS4_PS2_PKiPi.uses_flat_scratch, 0
	.set _ZN9rocsparseL38prune_dense2csr_kernel2_device_pointerILi16ELi64EfEEv21rocsparse_index_base_iiPKT1_lS4_PS2_PKiPi.has_dyn_sized_stack, 0
	.set _ZN9rocsparseL38prune_dense2csr_kernel2_device_pointerILi16ELi64EfEEv21rocsparse_index_base_iiPKT1_lS4_PS2_PKiPi.has_recursion, 0
	.set _ZN9rocsparseL38prune_dense2csr_kernel2_device_pointerILi16ELi64EfEEv21rocsparse_index_base_iiPKT1_lS4_PS2_PKiPi.has_indirect_call, 0
	.section	.AMDGPU.csdata,"",@progbits
; Kernel info:
; codeLenInByte = 420
; TotalNumSgprs: 20
; NumVgprs: 14
; ScratchSize: 0
; MemoryBound: 0
; FloatMode: 240
; IeeeMode: 1
; LDSByteSize: 0 bytes/workgroup (compile time only)
; SGPRBlocks: 0
; VGPRBlocks: 0
; NumSGPRsForWavesPerEU: 20
; NumVGPRsForWavesPerEU: 14
; NamedBarCnt: 0
; Occupancy: 16
; WaveLimiterHint : 0
; COMPUTE_PGM_RSRC2:SCRATCH_EN: 0
; COMPUTE_PGM_RSRC2:USER_SGPR: 2
; COMPUTE_PGM_RSRC2:TRAP_HANDLER: 0
; COMPUTE_PGM_RSRC2:TGID_X_EN: 1
; COMPUTE_PGM_RSRC2:TGID_Y_EN: 0
; COMPUTE_PGM_RSRC2:TGID_Z_EN: 0
; COMPUTE_PGM_RSRC2:TIDIG_COMP_CNT: 0
	.section	.text._ZN9rocsparseL38prune_dense2csr_kernel2_device_pointerILi8ELi32EdEEv21rocsparse_index_base_iiPKT1_lS4_PS2_PKiPi,"axG",@progbits,_ZN9rocsparseL38prune_dense2csr_kernel2_device_pointerILi8ELi32EdEEv21rocsparse_index_base_iiPKT1_lS4_PS2_PKiPi,comdat
	.globl	_ZN9rocsparseL38prune_dense2csr_kernel2_device_pointerILi8ELi32EdEEv21rocsparse_index_base_iiPKT1_lS4_PS2_PKiPi ; -- Begin function _ZN9rocsparseL38prune_dense2csr_kernel2_device_pointerILi8ELi32EdEEv21rocsparse_index_base_iiPKT1_lS4_PS2_PKiPi
	.p2align	8
	.type	_ZN9rocsparseL38prune_dense2csr_kernel2_device_pointerILi8ELi32EdEEv21rocsparse_index_base_iiPKT1_lS4_PS2_PKiPi,@function
_ZN9rocsparseL38prune_dense2csr_kernel2_device_pointerILi8ELi32EdEEv21rocsparse_index_base_iiPKT1_lS4_PS2_PKiPi: ; @_ZN9rocsparseL38prune_dense2csr_kernel2_device_pointerILi8ELi32EdEEv21rocsparse_index_base_iiPKT1_lS4_PS2_PKiPi
; %bb.0:
	s_load_b96 s[12:14], s[0:1], 0x0
	s_bfe_u32 s2, ttmp6, 0x4000c
	s_and_b32 s3, ttmp6, 15
	s_add_co_i32 s2, s2, 1
	s_getreg_b32 s4, hwreg(HW_REG_IB_STS2, 6, 4)
	s_mul_i32 s2, ttmp9, s2
	v_lshrrev_b32_e32 v1, 5, v0
	s_add_co_i32 s3, s3, s2
	s_cmp_eq_u32 s4, 0
	s_cselect_b32 s2, ttmp9, s3
	s_delay_alu instid0(VALU_DEP_1) | instid1(SALU_CYCLE_1)
	v_lshl_or_b32 v4, s2, 3, v1
	s_mov_b32 s2, exec_lo
	s_wait_kmcnt 0x0
	s_delay_alu instid0(VALU_DEP_1)
	v_cmpx_gt_i32_e64 s13, v4
	s_cbranch_execz .LBB7_6
; %bb.1:
	v_and_b32_e32 v0, 31, v0
	s_delay_alu instid0(VALU_DEP_1)
	v_cmp_gt_i32_e32 vcc_lo, s14, v0
	s_and_b32 exec_lo, exec_lo, vcc_lo
	s_cbranch_execz .LBB7_6
; %bb.2:
	s_load_b256 s[4:11], s[0:1], 0x18
	v_dual_mov_b32 v3, 0 :: v_dual_ashrrev_i32 v5, 31, v4
	s_load_b64 s[16:17], s[0:1], 0x10
	s_delay_alu instid0(VALU_DEP_1)
	v_mov_b32_e32 v1, v3
	s_wait_kmcnt 0x0
	global_load_b32 v2, v4, s[10:11] scale_offset
	v_mul_u64_e32 v[6:7], s[4:5], v[0:1]
	s_load_b64 s[2:3], s[0:1], 0x38
	s_load_b64 s[10:11], s[6:7], 0x0
	v_lshlrev_b64_e32 v[4:5], 3, v[4:5]
	v_xor_b32_e32 v1, 31, v0
	s_wait_xcnt 0x0
	s_mov_b32 s6, 0
	s_lshl_b64 s[0:1], s[4:5], 8
	s_delay_alu instid0(VALU_DEP_2) | instskip(SKIP_2) | instid1(VALU_DEP_3)
	v_lshl_add_u64 v[6:7], v[6:7], 3, v[4:5]
	v_lshrrev_b32_e64 v4, v1, -1
	v_mov_b32_e32 v1, 0x7c
	v_add_nc_u64_e32 v[6:7], s[16:17], v[6:7]
	s_wait_loadcnt 0x0
	v_subrev_nc_u32_e32 v8, s12, v2
	s_branch .LBB7_4
.LBB7_3:                                ;   in Loop: Header=BB7_4 Depth=1
	s_wait_xcnt 0x0
	s_or_b32 exec_lo, exec_lo, s4
	ds_bpermute_b32 v2, v1, v2
	v_add_nc_u32_e32 v0, 32, v0
	v_add_nc_u64_e32 v[6:7], s[0:1], v[6:7]
	s_delay_alu instid0(VALU_DEP_2)
	v_cmp_le_i32_e32 vcc_lo, s14, v0
	s_or_b32 s6, vcc_lo, s6
	s_wait_dscnt 0x0
	v_add_nc_u32_e32 v8, v2, v8
	s_and_not1_b32 exec_lo, exec_lo, s6
	s_cbranch_execz .LBB7_6
.LBB7_4:                                ; =>This Inner Loop Header: Depth=1
	s_barrier_signal -1
	s_barrier_wait -1
	global_load_b64 v[10:11], v[6:7], off
	s_wait_loadcnt 0x0
	s_wait_kmcnt 0x0
	v_cmp_gt_f64_e64 s5, |v[10:11]|, s[10:11]
	s_delay_alu instid0(VALU_DEP_1) | instskip(NEXT) | instid1(VALU_DEP_1)
	v_and_b32_e32 v2, s5, v4
	v_bcnt_u32_b32 v2, v2, 0
	s_wait_xcnt 0x0
	s_and_saveexec_b32 s4, s5
	s_cbranch_execz .LBB7_3
; %bb.5:                                ;   in Loop: Header=BB7_4 Depth=1
	v_ashrrev_i32_e32 v9, 31, v8
	v_add_nc_u32_e32 v5, s12, v0
	s_delay_alu instid0(VALU_DEP_2) | instskip(NEXT) | instid1(VALU_DEP_1)
	v_add_nc_u64_e32 v[12:13], v[8:9], v[2:3]
	v_lshl_add_u64 v[14:15], v[12:13], 3, s[8:9]
	v_lshl_add_u64 v[12:13], v[12:13], 2, s[2:3]
	global_store_b64 v[14:15], v[10:11], off offset:-8
	global_store_b32 v[12:13], v5, off offset:-4
	s_branch .LBB7_3
.LBB7_6:
	s_endpgm
	.section	.rodata,"a",@progbits
	.p2align	6, 0x0
	.amdhsa_kernel _ZN9rocsparseL38prune_dense2csr_kernel2_device_pointerILi8ELi32EdEEv21rocsparse_index_base_iiPKT1_lS4_PS2_PKiPi
		.amdhsa_group_segment_fixed_size 0
		.amdhsa_private_segment_fixed_size 0
		.amdhsa_kernarg_size 64
		.amdhsa_user_sgpr_count 2
		.amdhsa_user_sgpr_dispatch_ptr 0
		.amdhsa_user_sgpr_queue_ptr 0
		.amdhsa_user_sgpr_kernarg_segment_ptr 1
		.amdhsa_user_sgpr_dispatch_id 0
		.amdhsa_user_sgpr_kernarg_preload_length 0
		.amdhsa_user_sgpr_kernarg_preload_offset 0
		.amdhsa_user_sgpr_private_segment_size 0
		.amdhsa_wavefront_size32 1
		.amdhsa_uses_dynamic_stack 0
		.amdhsa_enable_private_segment 0
		.amdhsa_system_sgpr_workgroup_id_x 1
		.amdhsa_system_sgpr_workgroup_id_y 0
		.amdhsa_system_sgpr_workgroup_id_z 0
		.amdhsa_system_sgpr_workgroup_info 0
		.amdhsa_system_vgpr_workitem_id 0
		.amdhsa_next_free_vgpr 16
		.amdhsa_next_free_sgpr 18
		.amdhsa_named_barrier_count 0
		.amdhsa_reserve_vcc 1
		.amdhsa_float_round_mode_32 0
		.amdhsa_float_round_mode_16_64 0
		.amdhsa_float_denorm_mode_32 3
		.amdhsa_float_denorm_mode_16_64 3
		.amdhsa_fp16_overflow 0
		.amdhsa_memory_ordered 1
		.amdhsa_forward_progress 1
		.amdhsa_inst_pref_size 4
		.amdhsa_round_robin_scheduling 0
		.amdhsa_exception_fp_ieee_invalid_op 0
		.amdhsa_exception_fp_denorm_src 0
		.amdhsa_exception_fp_ieee_div_zero 0
		.amdhsa_exception_fp_ieee_overflow 0
		.amdhsa_exception_fp_ieee_underflow 0
		.amdhsa_exception_fp_ieee_inexact 0
		.amdhsa_exception_int_div_zero 0
	.end_amdhsa_kernel
	.section	.text._ZN9rocsparseL38prune_dense2csr_kernel2_device_pointerILi8ELi32EdEEv21rocsparse_index_base_iiPKT1_lS4_PS2_PKiPi,"axG",@progbits,_ZN9rocsparseL38prune_dense2csr_kernel2_device_pointerILi8ELi32EdEEv21rocsparse_index_base_iiPKT1_lS4_PS2_PKiPi,comdat
.Lfunc_end7:
	.size	_ZN9rocsparseL38prune_dense2csr_kernel2_device_pointerILi8ELi32EdEEv21rocsparse_index_base_iiPKT1_lS4_PS2_PKiPi, .Lfunc_end7-_ZN9rocsparseL38prune_dense2csr_kernel2_device_pointerILi8ELi32EdEEv21rocsparse_index_base_iiPKT1_lS4_PS2_PKiPi
                                        ; -- End function
	.set _ZN9rocsparseL38prune_dense2csr_kernel2_device_pointerILi8ELi32EdEEv21rocsparse_index_base_iiPKT1_lS4_PS2_PKiPi.num_vgpr, 16
	.set _ZN9rocsparseL38prune_dense2csr_kernel2_device_pointerILi8ELi32EdEEv21rocsparse_index_base_iiPKT1_lS4_PS2_PKiPi.num_agpr, 0
	.set _ZN9rocsparseL38prune_dense2csr_kernel2_device_pointerILi8ELi32EdEEv21rocsparse_index_base_iiPKT1_lS4_PS2_PKiPi.numbered_sgpr, 18
	.set _ZN9rocsparseL38prune_dense2csr_kernel2_device_pointerILi8ELi32EdEEv21rocsparse_index_base_iiPKT1_lS4_PS2_PKiPi.num_named_barrier, 0
	.set _ZN9rocsparseL38prune_dense2csr_kernel2_device_pointerILi8ELi32EdEEv21rocsparse_index_base_iiPKT1_lS4_PS2_PKiPi.private_seg_size, 0
	.set _ZN9rocsparseL38prune_dense2csr_kernel2_device_pointerILi8ELi32EdEEv21rocsparse_index_base_iiPKT1_lS4_PS2_PKiPi.uses_vcc, 1
	.set _ZN9rocsparseL38prune_dense2csr_kernel2_device_pointerILi8ELi32EdEEv21rocsparse_index_base_iiPKT1_lS4_PS2_PKiPi.uses_flat_scratch, 0
	.set _ZN9rocsparseL38prune_dense2csr_kernel2_device_pointerILi8ELi32EdEEv21rocsparse_index_base_iiPKT1_lS4_PS2_PKiPi.has_dyn_sized_stack, 0
	.set _ZN9rocsparseL38prune_dense2csr_kernel2_device_pointerILi8ELi32EdEEv21rocsparse_index_base_iiPKT1_lS4_PS2_PKiPi.has_recursion, 0
	.set _ZN9rocsparseL38prune_dense2csr_kernel2_device_pointerILi8ELi32EdEEv21rocsparse_index_base_iiPKT1_lS4_PS2_PKiPi.has_indirect_call, 0
	.section	.AMDGPU.csdata,"",@progbits
; Kernel info:
; codeLenInByte = 420
; TotalNumSgprs: 20
; NumVgprs: 16
; ScratchSize: 0
; MemoryBound: 0
; FloatMode: 240
; IeeeMode: 1
; LDSByteSize: 0 bytes/workgroup (compile time only)
; SGPRBlocks: 0
; VGPRBlocks: 0
; NumSGPRsForWavesPerEU: 20
; NumVGPRsForWavesPerEU: 16
; NamedBarCnt: 0
; Occupancy: 16
; WaveLimiterHint : 0
; COMPUTE_PGM_RSRC2:SCRATCH_EN: 0
; COMPUTE_PGM_RSRC2:USER_SGPR: 2
; COMPUTE_PGM_RSRC2:TRAP_HANDLER: 0
; COMPUTE_PGM_RSRC2:TGID_X_EN: 1
; COMPUTE_PGM_RSRC2:TGID_Y_EN: 0
; COMPUTE_PGM_RSRC2:TGID_Z_EN: 0
; COMPUTE_PGM_RSRC2:TIDIG_COMP_CNT: 0
	.section	.text._ZN9rocsparseL38prune_dense2csr_kernel2_device_pointerILi8ELi64EdEEv21rocsparse_index_base_iiPKT1_lS4_PS2_PKiPi,"axG",@progbits,_ZN9rocsparseL38prune_dense2csr_kernel2_device_pointerILi8ELi64EdEEv21rocsparse_index_base_iiPKT1_lS4_PS2_PKiPi,comdat
	.globl	_ZN9rocsparseL38prune_dense2csr_kernel2_device_pointerILi8ELi64EdEEv21rocsparse_index_base_iiPKT1_lS4_PS2_PKiPi ; -- Begin function _ZN9rocsparseL38prune_dense2csr_kernel2_device_pointerILi8ELi64EdEEv21rocsparse_index_base_iiPKT1_lS4_PS2_PKiPi
	.p2align	8
	.type	_ZN9rocsparseL38prune_dense2csr_kernel2_device_pointerILi8ELi64EdEEv21rocsparse_index_base_iiPKT1_lS4_PS2_PKiPi,@function
_ZN9rocsparseL38prune_dense2csr_kernel2_device_pointerILi8ELi64EdEEv21rocsparse_index_base_iiPKT1_lS4_PS2_PKiPi: ; @_ZN9rocsparseL38prune_dense2csr_kernel2_device_pointerILi8ELi64EdEEv21rocsparse_index_base_iiPKT1_lS4_PS2_PKiPi
; %bb.0:
	s_load_b96 s[12:14], s[0:1], 0x0
	s_bfe_u32 s2, ttmp6, 0x4000c
	s_and_b32 s3, ttmp6, 15
	s_add_co_i32 s2, s2, 1
	s_getreg_b32 s4, hwreg(HW_REG_IB_STS2, 6, 4)
	s_mul_i32 s2, ttmp9, s2
	v_lshrrev_b32_e32 v1, 6, v0
	s_add_co_i32 s3, s3, s2
	s_cmp_eq_u32 s4, 0
	s_cselect_b32 s2, ttmp9, s3
	s_delay_alu instid0(VALU_DEP_1) | instid1(SALU_CYCLE_1)
	v_lshl_or_b32 v4, s2, 3, v1
	s_mov_b32 s2, exec_lo
	s_wait_kmcnt 0x0
	s_delay_alu instid0(VALU_DEP_1)
	v_cmpx_gt_i32_e64 s13, v4
	s_cbranch_execz .LBB8_6
; %bb.1:
	v_and_b32_e32 v0, 63, v0
	s_delay_alu instid0(VALU_DEP_1)
	v_cmp_gt_i32_e32 vcc_lo, s14, v0
	s_and_b32 exec_lo, exec_lo, vcc_lo
	s_cbranch_execz .LBB8_6
; %bb.2:
	s_load_b256 s[4:11], s[0:1], 0x18
	v_dual_mov_b32 v3, 0 :: v_dual_ashrrev_i32 v5, 31, v4
	s_load_b64 s[16:17], s[0:1], 0x10
	s_delay_alu instid0(VALU_DEP_1)
	v_mov_b32_e32 v1, v3
	s_wait_kmcnt 0x0
	global_load_b32 v2, v4, s[10:11] scale_offset
	v_mul_u64_e32 v[6:7], s[4:5], v[0:1]
	s_load_b64 s[2:3], s[0:1], 0x38
	s_load_b64 s[10:11], s[6:7], 0x0
	v_lshlrev_b64_e32 v[4:5], 3, v[4:5]
	v_xor_b32_e32 v1, 63, v0
	s_wait_xcnt 0x0
	s_lshl_b64 s[0:1], s[4:5], 9
	s_mov_b32 s4, 0
	s_delay_alu instid0(VALU_DEP_2) | instskip(SKIP_2) | instid1(VALU_DEP_3)
	v_lshl_add_u64 v[6:7], v[6:7], 3, v[4:5]
	v_lshrrev_b64 v[4:5], v1, -1
	v_mov_b32_e32 v1, 0x7c
	v_add_nc_u64_e32 v[6:7], s[16:17], v[6:7]
	s_wait_loadcnt 0x0
	v_subrev_nc_u32_e32 v8, s12, v2
	s_branch .LBB8_4
.LBB8_3:                                ;   in Loop: Header=BB8_4 Depth=1
	s_wait_xcnt 0x0
	s_or_b32 exec_lo, exec_lo, s5
	ds_bpermute_b32 v2, v1, v2
	v_add_nc_u32_e32 v0, 64, v0
	v_add_nc_u64_e32 v[6:7], s[0:1], v[6:7]
	s_delay_alu instid0(VALU_DEP_2)
	v_cmp_le_i32_e32 vcc_lo, s14, v0
	s_or_b32 s4, vcc_lo, s4
	s_wait_dscnt 0x0
	v_add_nc_u32_e32 v8, v2, v8
	s_and_not1_b32 exec_lo, exec_lo, s4
	s_cbranch_execz .LBB8_6
.LBB8_4:                                ; =>This Inner Loop Header: Depth=1
	s_barrier_signal -1
	s_barrier_wait -1
	global_load_b64 v[10:11], v[6:7], off
	s_wait_loadcnt 0x0
	s_wait_kmcnt 0x0
	v_cmp_gt_f64_e64 s6, |v[10:11]|, s[10:11]
	s_delay_alu instid0(VALU_DEP_1) | instskip(NEXT) | instid1(VALU_DEP_1)
	v_and_b32_e32 v2, s6, v4
	v_bcnt_u32_b32 v2, v2, 0
	s_wait_xcnt 0x0
	s_and_saveexec_b32 s5, s6
	s_cbranch_execz .LBB8_3
; %bb.5:                                ;   in Loop: Header=BB8_4 Depth=1
	v_ashrrev_i32_e32 v9, 31, v8
	v_add_nc_u32_e32 v5, s12, v0
	s_delay_alu instid0(VALU_DEP_2) | instskip(NEXT) | instid1(VALU_DEP_1)
	v_add_nc_u64_e32 v[12:13], v[8:9], v[2:3]
	v_lshl_add_u64 v[14:15], v[12:13], 3, s[8:9]
	v_lshl_add_u64 v[12:13], v[12:13], 2, s[2:3]
	global_store_b64 v[14:15], v[10:11], off offset:-8
	global_store_b32 v[12:13], v5, off offset:-4
	s_branch .LBB8_3
.LBB8_6:
	s_endpgm
	.section	.rodata,"a",@progbits
	.p2align	6, 0x0
	.amdhsa_kernel _ZN9rocsparseL38prune_dense2csr_kernel2_device_pointerILi8ELi64EdEEv21rocsparse_index_base_iiPKT1_lS4_PS2_PKiPi
		.amdhsa_group_segment_fixed_size 0
		.amdhsa_private_segment_fixed_size 0
		.amdhsa_kernarg_size 64
		.amdhsa_user_sgpr_count 2
		.amdhsa_user_sgpr_dispatch_ptr 0
		.amdhsa_user_sgpr_queue_ptr 0
		.amdhsa_user_sgpr_kernarg_segment_ptr 1
		.amdhsa_user_sgpr_dispatch_id 0
		.amdhsa_user_sgpr_kernarg_preload_length 0
		.amdhsa_user_sgpr_kernarg_preload_offset 0
		.amdhsa_user_sgpr_private_segment_size 0
		.amdhsa_wavefront_size32 1
		.amdhsa_uses_dynamic_stack 0
		.amdhsa_enable_private_segment 0
		.amdhsa_system_sgpr_workgroup_id_x 1
		.amdhsa_system_sgpr_workgroup_id_y 0
		.amdhsa_system_sgpr_workgroup_id_z 0
		.amdhsa_system_sgpr_workgroup_info 0
		.amdhsa_system_vgpr_workitem_id 0
		.amdhsa_next_free_vgpr 16
		.amdhsa_next_free_sgpr 18
		.amdhsa_named_barrier_count 0
		.amdhsa_reserve_vcc 1
		.amdhsa_float_round_mode_32 0
		.amdhsa_float_round_mode_16_64 0
		.amdhsa_float_denorm_mode_32 3
		.amdhsa_float_denorm_mode_16_64 3
		.amdhsa_fp16_overflow 0
		.amdhsa_memory_ordered 1
		.amdhsa_forward_progress 1
		.amdhsa_inst_pref_size 4
		.amdhsa_round_robin_scheduling 0
		.amdhsa_exception_fp_ieee_invalid_op 0
		.amdhsa_exception_fp_denorm_src 0
		.amdhsa_exception_fp_ieee_div_zero 0
		.amdhsa_exception_fp_ieee_overflow 0
		.amdhsa_exception_fp_ieee_underflow 0
		.amdhsa_exception_fp_ieee_inexact 0
		.amdhsa_exception_int_div_zero 0
	.end_amdhsa_kernel
	.section	.text._ZN9rocsparseL38prune_dense2csr_kernel2_device_pointerILi8ELi64EdEEv21rocsparse_index_base_iiPKT1_lS4_PS2_PKiPi,"axG",@progbits,_ZN9rocsparseL38prune_dense2csr_kernel2_device_pointerILi8ELi64EdEEv21rocsparse_index_base_iiPKT1_lS4_PS2_PKiPi,comdat
.Lfunc_end8:
	.size	_ZN9rocsparseL38prune_dense2csr_kernel2_device_pointerILi8ELi64EdEEv21rocsparse_index_base_iiPKT1_lS4_PS2_PKiPi, .Lfunc_end8-_ZN9rocsparseL38prune_dense2csr_kernel2_device_pointerILi8ELi64EdEEv21rocsparse_index_base_iiPKT1_lS4_PS2_PKiPi
                                        ; -- End function
	.set _ZN9rocsparseL38prune_dense2csr_kernel2_device_pointerILi8ELi64EdEEv21rocsparse_index_base_iiPKT1_lS4_PS2_PKiPi.num_vgpr, 16
	.set _ZN9rocsparseL38prune_dense2csr_kernel2_device_pointerILi8ELi64EdEEv21rocsparse_index_base_iiPKT1_lS4_PS2_PKiPi.num_agpr, 0
	.set _ZN9rocsparseL38prune_dense2csr_kernel2_device_pointerILi8ELi64EdEEv21rocsparse_index_base_iiPKT1_lS4_PS2_PKiPi.numbered_sgpr, 18
	.set _ZN9rocsparseL38prune_dense2csr_kernel2_device_pointerILi8ELi64EdEEv21rocsparse_index_base_iiPKT1_lS4_PS2_PKiPi.num_named_barrier, 0
	.set _ZN9rocsparseL38prune_dense2csr_kernel2_device_pointerILi8ELi64EdEEv21rocsparse_index_base_iiPKT1_lS4_PS2_PKiPi.private_seg_size, 0
	.set _ZN9rocsparseL38prune_dense2csr_kernel2_device_pointerILi8ELi64EdEEv21rocsparse_index_base_iiPKT1_lS4_PS2_PKiPi.uses_vcc, 1
	.set _ZN9rocsparseL38prune_dense2csr_kernel2_device_pointerILi8ELi64EdEEv21rocsparse_index_base_iiPKT1_lS4_PS2_PKiPi.uses_flat_scratch, 0
	.set _ZN9rocsparseL38prune_dense2csr_kernel2_device_pointerILi8ELi64EdEEv21rocsparse_index_base_iiPKT1_lS4_PS2_PKiPi.has_dyn_sized_stack, 0
	.set _ZN9rocsparseL38prune_dense2csr_kernel2_device_pointerILi8ELi64EdEEv21rocsparse_index_base_iiPKT1_lS4_PS2_PKiPi.has_recursion, 0
	.set _ZN9rocsparseL38prune_dense2csr_kernel2_device_pointerILi8ELi64EdEEv21rocsparse_index_base_iiPKT1_lS4_PS2_PKiPi.has_indirect_call, 0
	.section	.AMDGPU.csdata,"",@progbits
; Kernel info:
; codeLenInByte = 420
; TotalNumSgprs: 20
; NumVgprs: 16
; ScratchSize: 0
; MemoryBound: 0
; FloatMode: 240
; IeeeMode: 1
; LDSByteSize: 0 bytes/workgroup (compile time only)
; SGPRBlocks: 0
; VGPRBlocks: 0
; NumSGPRsForWavesPerEU: 20
; NumVGPRsForWavesPerEU: 16
; NamedBarCnt: 0
; Occupancy: 16
; WaveLimiterHint : 0
; COMPUTE_PGM_RSRC2:SCRATCH_EN: 0
; COMPUTE_PGM_RSRC2:USER_SGPR: 2
; COMPUTE_PGM_RSRC2:TRAP_HANDLER: 0
; COMPUTE_PGM_RSRC2:TGID_X_EN: 1
; COMPUTE_PGM_RSRC2:TGID_Y_EN: 0
; COMPUTE_PGM_RSRC2:TGID_Z_EN: 0
; COMPUTE_PGM_RSRC2:TIDIG_COMP_CNT: 0
	.section	.AMDGPU.gpr_maximums,"",@progbits
	.set amdgpu.max_num_vgpr, 0
	.set amdgpu.max_num_agpr, 0
	.set amdgpu.max_num_sgpr, 0
	.section	.AMDGPU.csdata,"",@progbits
	.type	__hip_cuid_a7e787eff4572d05,@object ; @__hip_cuid_a7e787eff4572d05
	.section	.bss,"aw",@nobits
	.globl	__hip_cuid_a7e787eff4572d05
__hip_cuid_a7e787eff4572d05:
	.byte	0                               ; 0x0
	.size	__hip_cuid_a7e787eff4572d05, 1

	.ident	"AMD clang version 22.0.0git (https://github.com/RadeonOpenCompute/llvm-project roc-7.2.4 26084 f58b06dce1f9c15707c5f808fd002e18c2accf7e)"
	.section	".note.GNU-stack","",@progbits
	.addrsig
	.addrsig_sym __hip_cuid_a7e787eff4572d05
	.amdgpu_metadata
---
amdhsa.kernels:
  - .args:
      - .offset:         0
        .size:           4
        .value_kind:     by_value
      - .actual_access:  read_only
        .address_space:  global
        .offset:         8
        .size:           8
        .value_kind:     global_buffer
      - .actual_access:  write_only
        .address_space:  global
        .offset:         16
        .size:           8
        .value_kind:     global_buffer
    .group_segment_fixed_size: 0
    .kernarg_segment_align: 8
    .kernarg_segment_size: 24
    .language:       OpenCL C
    .language_version:
      - 2
      - 0
    .max_flat_workgroup_size: 1
    .name:           _ZN9rocsparseL23nnz_total_device_kernelEiPKiPi
    .private_segment_fixed_size: 0
    .sgpr_count:     8
    .sgpr_spill_count: 0
    .symbol:         _ZN9rocsparseL23nnz_total_device_kernelEiPKiPi.kd
    .uniform_work_group_size: 1
    .uses_dynamic_stack: false
    .vgpr_count:     2
    .vgpr_spill_count: 0
    .wavefront_size: 32
  - .args:
      - .offset:         0
        .size:           4
        .value_kind:     by_value
      - .offset:         4
        .size:           4
        .value_kind:     by_value
      - .address_space:  global
        .offset:         8
        .size:           8
        .value_kind:     global_buffer
      - .offset:         16
        .size:           8
        .value_kind:     by_value
      - .address_space:  global
        .offset:         24
        .size:           8
        .value_kind:     global_buffer
    .group_segment_fixed_size: 0
    .kernarg_segment_align: 8
    .kernarg_segment_size: 32
    .language:       OpenCL C
    .language_version:
      - 2
      - 0
    .max_flat_workgroup_size: 256
    .name:           _ZN9rocsparseL10abs_kernelILi256EfEEviiPKT0_lPS1_
    .private_segment_fixed_size: 0
    .sgpr_count:     10
    .sgpr_spill_count: 0
    .symbol:         _ZN9rocsparseL10abs_kernelILi256EfEEviiPKT0_lPS1_.kd
    .uniform_work_group_size: 1
    .uses_dynamic_stack: false
    .vgpr_count:     6
    .vgpr_spill_count: 0
    .wavefront_size: 32
  - .args:
      - .offset:         0
        .size:           4
        .value_kind:     by_value
      - .offset:         4
        .size:           4
        .value_kind:     by_value
      - .actual_access:  read_only
        .address_space:  global
        .offset:         8
        .size:           8
        .value_kind:     global_buffer
      - .offset:         16
        .size:           8
        .value_kind:     by_value
      - .address_space:  global
        .offset:         24
        .size:           8
        .value_kind:     global_buffer
      - .actual_access:  write_only
        .address_space:  global
        .offset:         32
        .size:           8
        .value_kind:     global_buffer
      - .offset:         40
        .size:           4
        .value_kind:     hidden_block_count_x
      - .offset:         44
        .size:           4
        .value_kind:     hidden_block_count_y
      - .offset:         48
        .size:           4
        .value_kind:     hidden_block_count_z
      - .offset:         52
        .size:           2
        .value_kind:     hidden_group_size_x
      - .offset:         54
        .size:           2
        .value_kind:     hidden_group_size_y
      - .offset:         56
        .size:           2
        .value_kind:     hidden_group_size_z
      - .offset:         58
        .size:           2
        .value_kind:     hidden_remainder_x
      - .offset:         60
        .size:           2
        .value_kind:     hidden_remainder_y
      - .offset:         62
        .size:           2
        .value_kind:     hidden_remainder_z
      - .offset:         80
        .size:           8
        .value_kind:     hidden_global_offset_x
      - .offset:         88
        .size:           8
        .value_kind:     hidden_global_offset_y
      - .offset:         96
        .size:           8
        .value_kind:     hidden_global_offset_z
      - .offset:         104
        .size:           2
        .value_kind:     hidden_grid_dims
    .group_segment_fixed_size: 16384
    .kernarg_segment_align: 8
    .kernarg_segment_size: 296
    .language:       OpenCL C
    .language_version:
      - 2
      - 0
    .max_flat_workgroup_size: 1024
    .name:           _ZN9rocsparseL27prune_dense2csr_nnz_kernel2ILi64ELi16EfEEviiPKT1_lS3_Pi
    .private_segment_fixed_size: 0
    .sgpr_count:     22
    .sgpr_spill_count: 0
    .symbol:         _ZN9rocsparseL27prune_dense2csr_nnz_kernel2ILi64ELi16EfEEviiPKT1_lS3_Pi.kd
    .uniform_work_group_size: 1
    .uses_dynamic_stack: false
    .vgpr_count:     33
    .vgpr_spill_count: 0
    .wavefront_size: 32
  - .args:
      - .offset:         0
        .size:           4
        .value_kind:     by_value
      - .offset:         4
        .size:           4
        .value_kind:     by_value
      - .address_space:  global
        .offset:         8
        .size:           8
        .value_kind:     global_buffer
      - .offset:         16
        .size:           8
        .value_kind:     by_value
      - .address_space:  global
        .offset:         24
        .size:           8
        .value_kind:     global_buffer
    .group_segment_fixed_size: 0
    .kernarg_segment_align: 8
    .kernarg_segment_size: 32
    .language:       OpenCL C
    .language_version:
      - 2
      - 0
    .max_flat_workgroup_size: 256
    .name:           _ZN9rocsparseL10abs_kernelILi256EdEEviiPKT0_lPS1_
    .private_segment_fixed_size: 0
    .sgpr_count:     10
    .sgpr_spill_count: 0
    .symbol:         _ZN9rocsparseL10abs_kernelILi256EdEEviiPKT0_lPS1_.kd
    .uniform_work_group_size: 1
    .uses_dynamic_stack: false
    .vgpr_count:     6
    .vgpr_spill_count: 0
    .wavefront_size: 32
  - .args:
      - .offset:         0
        .size:           4
        .value_kind:     by_value
      - .offset:         4
        .size:           4
        .value_kind:     by_value
      - .actual_access:  read_only
        .address_space:  global
        .offset:         8
        .size:           8
        .value_kind:     global_buffer
      - .offset:         16
        .size:           8
        .value_kind:     by_value
      - .address_space:  global
        .offset:         24
        .size:           8
        .value_kind:     global_buffer
      - .actual_access:  write_only
        .address_space:  global
        .offset:         32
        .size:           8
        .value_kind:     global_buffer
      - .offset:         40
        .size:           4
        .value_kind:     hidden_block_count_x
      - .offset:         44
        .size:           4
        .value_kind:     hidden_block_count_y
      - .offset:         48
        .size:           4
        .value_kind:     hidden_block_count_z
      - .offset:         52
        .size:           2
        .value_kind:     hidden_group_size_x
      - .offset:         54
        .size:           2
        .value_kind:     hidden_group_size_y
      - .offset:         56
        .size:           2
        .value_kind:     hidden_group_size_z
      - .offset:         58
        .size:           2
        .value_kind:     hidden_remainder_x
      - .offset:         60
        .size:           2
        .value_kind:     hidden_remainder_y
      - .offset:         62
        .size:           2
        .value_kind:     hidden_remainder_z
      - .offset:         80
        .size:           8
        .value_kind:     hidden_global_offset_x
      - .offset:         88
        .size:           8
        .value_kind:     hidden_global_offset_y
      - .offset:         96
        .size:           8
        .value_kind:     hidden_global_offset_z
      - .offset:         104
        .size:           2
        .value_kind:     hidden_grid_dims
    .group_segment_fixed_size: 16384
    .kernarg_segment_align: 8
    .kernarg_segment_size: 296
    .language:       OpenCL C
    .language_version:
      - 2
      - 0
    .max_flat_workgroup_size: 1024
    .name:           _ZN9rocsparseL27prune_dense2csr_nnz_kernel2ILi64ELi16EdEEviiPKT1_lS3_Pi
    .private_segment_fixed_size: 0
    .sgpr_count:     23
    .sgpr_spill_count: 0
    .symbol:         _ZN9rocsparseL27prune_dense2csr_nnz_kernel2ILi64ELi16EdEEviiPKT1_lS3_Pi.kd
    .uniform_work_group_size: 1
    .uses_dynamic_stack: false
    .vgpr_count:     40
    .vgpr_spill_count: 0
    .wavefront_size: 32
  - .args:
      - .offset:         0
        .size:           4
        .value_kind:     by_value
      - .offset:         4
        .size:           4
        .value_kind:     by_value
      - .offset:         8
        .size:           4
        .value_kind:     by_value
      - .actual_access:  read_only
        .address_space:  global
        .offset:         16
        .size:           8
        .value_kind:     global_buffer
      - .offset:         24
        .size:           8
        .value_kind:     by_value
      - .address_space:  global
        .offset:         32
        .size:           8
        .value_kind:     global_buffer
      - .actual_access:  write_only
        .address_space:  global
        .offset:         40
        .size:           8
        .value_kind:     global_buffer
      - .actual_access:  read_only
        .address_space:  global
        .offset:         48
        .size:           8
        .value_kind:     global_buffer
      - .actual_access:  write_only
        .address_space:  global
        .offset:         56
        .size:           8
        .value_kind:     global_buffer
    .group_segment_fixed_size: 0
    .kernarg_segment_align: 8
    .kernarg_segment_size: 64
    .language:       OpenCL C
    .language_version:
      - 2
      - 0
    .max_flat_workgroup_size: 512
    .name:           _ZN9rocsparseL38prune_dense2csr_kernel2_device_pointerILi16ELi32EfEEv21rocsparse_index_base_iiPKT1_lS4_PS2_PKiPi
    .private_segment_fixed_size: 0
    .sgpr_count:     20
    .sgpr_spill_count: 0
    .symbol:         _ZN9rocsparseL38prune_dense2csr_kernel2_device_pointerILi16ELi32EfEEv21rocsparse_index_base_iiPKT1_lS4_PS2_PKiPi.kd
    .uniform_work_group_size: 1
    .uses_dynamic_stack: false
    .vgpr_count:     14
    .vgpr_spill_count: 0
    .wavefront_size: 32
  - .args:
      - .offset:         0
        .size:           4
        .value_kind:     by_value
      - .offset:         4
        .size:           4
        .value_kind:     by_value
      - .offset:         8
        .size:           4
        .value_kind:     by_value
      - .actual_access:  read_only
        .address_space:  global
        .offset:         16
        .size:           8
        .value_kind:     global_buffer
      - .offset:         24
        .size:           8
        .value_kind:     by_value
      - .address_space:  global
        .offset:         32
        .size:           8
        .value_kind:     global_buffer
      - .actual_access:  write_only
        .address_space:  global
        .offset:         40
        .size:           8
        .value_kind:     global_buffer
      - .actual_access:  read_only
        .address_space:  global
        .offset:         48
        .size:           8
        .value_kind:     global_buffer
      - .actual_access:  write_only
        .address_space:  global
        .offset:         56
        .size:           8
        .value_kind:     global_buffer
    .group_segment_fixed_size: 0
    .kernarg_segment_align: 8
    .kernarg_segment_size: 64
    .language:       OpenCL C
    .language_version:
      - 2
      - 0
    .max_flat_workgroup_size: 1024
    .name:           _ZN9rocsparseL38prune_dense2csr_kernel2_device_pointerILi16ELi64EfEEv21rocsparse_index_base_iiPKT1_lS4_PS2_PKiPi
    .private_segment_fixed_size: 0
    .sgpr_count:     20
    .sgpr_spill_count: 0
    .symbol:         _ZN9rocsparseL38prune_dense2csr_kernel2_device_pointerILi16ELi64EfEEv21rocsparse_index_base_iiPKT1_lS4_PS2_PKiPi.kd
    .uniform_work_group_size: 1
    .uses_dynamic_stack: false
    .vgpr_count:     14
    .vgpr_spill_count: 0
    .wavefront_size: 32
  - .args:
      - .offset:         0
        .size:           4
        .value_kind:     by_value
      - .offset:         4
        .size:           4
        .value_kind:     by_value
      - .offset:         8
        .size:           4
        .value_kind:     by_value
      - .actual_access:  read_only
        .address_space:  global
        .offset:         16
        .size:           8
        .value_kind:     global_buffer
      - .offset:         24
        .size:           8
        .value_kind:     by_value
      - .address_space:  global
        .offset:         32
        .size:           8
        .value_kind:     global_buffer
      - .actual_access:  write_only
        .address_space:  global
        .offset:         40
        .size:           8
        .value_kind:     global_buffer
      - .actual_access:  read_only
        .address_space:  global
        .offset:         48
        .size:           8
        .value_kind:     global_buffer
      - .actual_access:  write_only
        .address_space:  global
        .offset:         56
        .size:           8
        .value_kind:     global_buffer
    .group_segment_fixed_size: 0
    .kernarg_segment_align: 8
    .kernarg_segment_size: 64
    .language:       OpenCL C
    .language_version:
      - 2
      - 0
    .max_flat_workgroup_size: 256
    .name:           _ZN9rocsparseL38prune_dense2csr_kernel2_device_pointerILi8ELi32EdEEv21rocsparse_index_base_iiPKT1_lS4_PS2_PKiPi
    .private_segment_fixed_size: 0
    .sgpr_count:     20
    .sgpr_spill_count: 0
    .symbol:         _ZN9rocsparseL38prune_dense2csr_kernel2_device_pointerILi8ELi32EdEEv21rocsparse_index_base_iiPKT1_lS4_PS2_PKiPi.kd
    .uniform_work_group_size: 1
    .uses_dynamic_stack: false
    .vgpr_count:     16
    .vgpr_spill_count: 0
    .wavefront_size: 32
  - .args:
      - .offset:         0
        .size:           4
        .value_kind:     by_value
      - .offset:         4
        .size:           4
        .value_kind:     by_value
      - .offset:         8
        .size:           4
        .value_kind:     by_value
      - .actual_access:  read_only
        .address_space:  global
        .offset:         16
        .size:           8
        .value_kind:     global_buffer
      - .offset:         24
        .size:           8
        .value_kind:     by_value
      - .address_space:  global
        .offset:         32
        .size:           8
        .value_kind:     global_buffer
      - .actual_access:  write_only
        .address_space:  global
        .offset:         40
        .size:           8
        .value_kind:     global_buffer
      - .actual_access:  read_only
        .address_space:  global
        .offset:         48
        .size:           8
        .value_kind:     global_buffer
      - .actual_access:  write_only
        .address_space:  global
        .offset:         56
        .size:           8
        .value_kind:     global_buffer
    .group_segment_fixed_size: 0
    .kernarg_segment_align: 8
    .kernarg_segment_size: 64
    .language:       OpenCL C
    .language_version:
      - 2
      - 0
    .max_flat_workgroup_size: 512
    .name:           _ZN9rocsparseL38prune_dense2csr_kernel2_device_pointerILi8ELi64EdEEv21rocsparse_index_base_iiPKT1_lS4_PS2_PKiPi
    .private_segment_fixed_size: 0
    .sgpr_count:     20
    .sgpr_spill_count: 0
    .symbol:         _ZN9rocsparseL38prune_dense2csr_kernel2_device_pointerILi8ELi64EdEEv21rocsparse_index_base_iiPKT1_lS4_PS2_PKiPi.kd
    .uniform_work_group_size: 1
    .uses_dynamic_stack: false
    .vgpr_count:     16
    .vgpr_spill_count: 0
    .wavefront_size: 32
amdhsa.target:   amdgcn-amd-amdhsa--gfx1250
amdhsa.version:
  - 1
  - 2
...

	.end_amdgpu_metadata
